;; amdgpu-corpus repo=ROCm/rocFFT kind=compiled arch=gfx906 opt=O3
	.text
	.amdgcn_target "amdgcn-amd-amdhsa--gfx906"
	.amdhsa_code_object_version 6
	.protected	bluestein_single_fwd_len850_dim1_sp_op_CI_CI ; -- Begin function bluestein_single_fwd_len850_dim1_sp_op_CI_CI
	.globl	bluestein_single_fwd_len850_dim1_sp_op_CI_CI
	.p2align	8
	.type	bluestein_single_fwd_len850_dim1_sp_op_CI_CI,@function
bluestein_single_fwd_len850_dim1_sp_op_CI_CI: ; @bluestein_single_fwd_len850_dim1_sp_op_CI_CI
; %bb.0:
	s_load_dwordx4 s[8:11], s[4:5], 0x28
	s_mov_b64 s[22:23], s[2:3]
	v_mul_u32_u24_e32 v1, 0x304, v0
	s_mov_b64 s[20:21], s[0:1]
	v_add_u32_sdwa v72, s6, v1 dst_sel:DWORD dst_unused:UNUSED_PAD src0_sel:DWORD src1_sel:WORD_1
	v_mov_b32_e32 v73, 0
	s_add_u32 s20, s20, s7
	s_waitcnt lgkmcnt(0)
	v_cmp_gt_u64_e32 vcc, s[8:9], v[72:73]
	s_addc_u32 s21, s21, 0
	s_and_saveexec_b64 s[0:1], vcc
	s_cbranch_execz .LBB0_10
; %bb.1:
	s_load_dwordx4 s[0:3], s[4:5], 0x18
	s_load_dwordx4 s[12:15], s[4:5], 0x0
	s_movk_i32 s8, 0x1000
	s_load_dwordx2 s[4:5], s[4:5], 0x38
                                        ; implicit-def: $vgpr68
                                        ; implicit-def: $vgpr64
                                        ; implicit-def: $vgpr60
                                        ; implicit-def: $vgpr56
	s_waitcnt lgkmcnt(0)
	s_load_dwordx4 s[16:19], s[0:1], 0x0
	s_movk_i32 s0, 0x55
	v_mul_lo_u16_sdwa v1, v1, s0 dst_sel:DWORD dst_unused:UNUSED_PAD src0_sel:WORD_1 src1_sel:DWORD
	v_sub_u16_e32 v94, v0, v1
	v_lshlrev_b32_e32 v93, 3, v94
	s_waitcnt lgkmcnt(0)
	v_mad_u64_u32 v[0:1], s[0:1], s18, v72, 0
	v_mad_u64_u32 v[2:3], s[0:1], s16, v94, 0
	s_mul_i32 s7, s16, 0x2a8
	v_mul_lo_u16_e32 v47, 10, v94
	v_mad_u64_u32 v[4:5], s[0:1], s19, v72, v[1:2]
	v_lshlrev_b32_e32 v96, 3, v47
	v_mad_u64_u32 v[5:6], s[0:1], s17, v94, v[3:4]
	v_mov_b32_e32 v1, v4
	v_lshlrev_b64 v[0:1], 3, v[0:1]
	v_mov_b32_e32 v6, s11
	v_mov_b32_e32 v3, v5
	v_add_co_u32_e32 v4, vcc, s10, v0
	v_addc_co_u32_e32 v5, vcc, v6, v1, vcc
	v_lshlrev_b64 v[0:1], 3, v[2:3]
	s_mul_i32 s0, s17, 0x2a8
	v_add_co_u32_e32 v0, vcc, v4, v0
	s_mul_hi_u32 s1, s16, 0x2a8
	v_addc_co_u32_e32 v1, vcc, v5, v1, vcc
	s_add_i32 s6, s1, s0
	v_mov_b32_e32 v3, s6
	v_add_co_u32_e32 v2, vcc, s7, v0
	v_addc_co_u32_e32 v3, vcc, v1, v3, vcc
	global_load_dwordx2 v[4:5], v[0:1], off
	global_load_dwordx2 v[6:7], v[2:3], off
	v_mov_b32_e32 v0, s13
	v_add_co_u32_e32 v95, vcc, s12, v93
	v_addc_co_u32_e64 v1, s[0:1], 0, v0, vcc
	v_add_co_u32_e64 v0, s[0:1], s8, v95
	v_addc_co_u32_e64 v1, s[0:1], 0, v1, s[0:1]
	v_mov_b32_e32 v8, s6
	v_add_co_u32_e64 v2, s[0:1], s7, v2
	v_addc_co_u32_e64 v3, s[0:1], v3, v8, s[0:1]
	v_mov_b32_e32 v9, s6
	v_add_co_u32_e64 v8, s[0:1], s7, v2
	v_addc_co_u32_e64 v9, s[0:1], v3, v9, s[0:1]
	global_load_dwordx2 v[89:90], v93, s[12:13]
	global_load_dwordx2 v[87:88], v93, s[12:13] offset:680
	global_load_dwordx2 v[85:86], v93, s[12:13] offset:1360
	;; [unrolled: 1-line block ×6, first 2 shown]
	global_load_dwordx2 v[70:71], v[0:1], off offset:664
	v_mov_b32_e32 v14, s6
	global_load_dwordx2 v[10:11], v[2:3], off
	global_load_dwordx2 v[12:13], v[8:9], off
	v_add_co_u32_e64 v2, s[0:1], s7, v8
	v_addc_co_u32_e64 v3, s[0:1], v9, v14, s[0:1]
	v_mov_b32_e32 v15, s6
	global_load_dwordx2 v[8:9], v[2:3], off
	v_add_co_u32_e64 v2, s[0:1], s7, v2
	v_addc_co_u32_e64 v3, s[0:1], v3, v15, s[0:1]
	v_mov_b32_e32 v16, s6
	;; [unrolled: 4-line block ×4, first 2 shown]
	global_load_dwordx2 v[18:19], v[2:3], off
	v_add_co_u32_e64 v2, s[0:1], s7, v2
	v_addc_co_u32_e64 v3, s[0:1], v3, v20, s[0:1]
	global_load_dwordx2 v[20:21], v[2:3], off
	global_load_dwordx2 v[77:78], v[0:1], off offset:1344
	v_mov_b32_e32 v22, s6
	v_add_co_u32_e64 v2, s[0:1], s7, v2
	v_addc_co_u32_e64 v3, s[0:1], v3, v22, s[0:1]
	global_load_dwordx2 v[22:23], v[2:3], off
	global_load_dwordx2 v[237:238], v[0:1], off offset:2024
	s_load_dwordx4 s[8:11], s[2:3], 0x0
	s_mov_b32 s0, 0x3f737871
	s_waitcnt vmcnt(17)
	v_mul_f32_e32 v0, v4, v90
	s_waitcnt vmcnt(16)
	v_mul_f32_e32 v2, v6, v88
	v_fma_f32 v1, v5, v89, -v0
	v_mul_f32_e32 v0, v5, v90
	v_fma_f32 v3, v7, v87, -v2
	v_mul_f32_e32 v2, v7, v88
	v_fmac_f32_e32 v0, v4, v89
	v_fmac_f32_e32 v2, v6, v87
	ds_write2_b64 v93, v[0:1], v[2:3] offset1:85
	s_waitcnt vmcnt(9)
	v_mul_f32_e32 v0, v11, v86
	v_mul_f32_e32 v1, v10, v86
	s_waitcnt vmcnt(8)
	v_mul_f32_e32 v2, v13, v84
	v_mul_f32_e32 v3, v12, v84
	v_fmac_f32_e32 v0, v10, v85
	v_fma_f32 v1, v11, v85, -v1
	v_fmac_f32_e32 v2, v12, v83
	v_fma_f32 v3, v13, v83, -v3
	ds_write2_b64 v93, v[0:1], v[2:3] offset0:170 offset1:255
	s_waitcnt vmcnt(7)
	v_mul_f32_e32 v0, v9, v82
	v_mul_f32_e32 v1, v8, v82
	v_fmac_f32_e32 v0, v8, v81
	s_waitcnt vmcnt(6)
	v_mul_f32_e32 v2, v15, v80
	v_mul_f32_e32 v3, v14, v80
	v_fma_f32 v1, v9, v81, -v1
	v_fmac_f32_e32 v2, v14, v79
	v_fma_f32 v3, v15, v79, -v3
	v_add_u32_e32 v4, 0x800, v93
	ds_write2_b64 v4, v[0:1], v[2:3] offset0:84 offset1:169
	s_waitcnt vmcnt(5)
	v_mul_f32_e32 v0, v17, v76
	v_mul_f32_e32 v1, v16, v76
	v_fmac_f32_e32 v0, v16, v75
	v_fma_f32 v1, v17, v75, -v1
	v_add_u32_e32 v6, 0xc00, v93
	s_waitcnt vmcnt(4)
	v_mul_f32_e32 v2, v19, v71
	v_mul_f32_e32 v3, v18, v71
	v_fmac_f32_e32 v2, v18, v70
	v_fma_f32 v3, v19, v70, -v3
	ds_write2_b64 v6, v[0:1], v[2:3] offset0:126 offset1:211
	s_waitcnt vmcnt(2)
	v_mul_f32_e32 v0, v21, v78
	v_mul_f32_e32 v1, v20, v78
	v_fmac_f32_e32 v0, v20, v77
	v_fma_f32 v1, v21, v77, -v1
	v_add_u32_e32 v5, 0x1000, v93
	s_waitcnt vmcnt(0)
	v_mul_f32_e32 v2, v23, v238
	v_mul_f32_e32 v3, v22, v238
	v_fmac_f32_e32 v2, v22, v237
	v_fma_f32 v3, v23, v237, -v3
	ds_write2_b64 v5, v[0:1], v[2:3] offset0:168 offset1:253
	s_waitcnt lgkmcnt(0)
	s_barrier
	ds_read2_b64 v[0:3], v93 offset1:85
	ds_read2_b64 v[7:10], v93 offset0:170 offset1:255
	ds_read2_b64 v[11:14], v4 offset0:84 offset1:169
	s_waitcnt lgkmcnt(1)
	v_add_f32_e32 v15, v0, v7
	v_add_f32_e32 v19, v2, v9
	s_waitcnt lgkmcnt(0)
	v_add_f32_e32 v23, v15, v11
	v_add_f32_e32 v15, v1, v8
	;; [unrolled: 1-line block ×5, first 2 shown]
	ds_read2_b64 v[15:18], v6 offset0:126 offset1:211
	v_add_f32_e32 v26, v19, v14
	ds_read2_b64 v[19:22], v5 offset0:168 offset1:253
	v_sub_f32_e32 v29, v7, v11
	v_sub_f32_e32 v30, v11, v7
	s_waitcnt lgkmcnt(1)
	v_add_f32_e32 v27, v11, v15
	v_sub_f32_e32 v28, v12, v16
	v_add_f32_e32 v31, v12, v16
	v_sub_f32_e32 v32, v11, v15
	v_sub_f32_e32 v11, v8, v12
	v_sub_f32_e32 v12, v12, v8
	v_add_f32_e32 v33, v13, v17
	v_sub_f32_e32 v34, v14, v18
	v_sub_f32_e32 v35, v9, v13
	;; [unrolled: 4-line block ×3, first 2 shown]
	s_waitcnt lgkmcnt(0)
	v_sub_f32_e32 v39, v8, v20
	v_add_f32_e32 v42, v8, v20
	v_sub_f32_e32 v43, v10, v22
	v_add_f32_e32 v44, v9, v21
	;; [unrolled: 2-line block ×3, first 2 shown]
	v_add_f32_e32 v8, v24, v16
	v_add_f32_e32 v9, v25, v17
	;; [unrolled: 1-line block ×3, first 2 shown]
	v_sub_f32_e32 v24, v20, v16
	v_sub_f32_e32 v25, v21, v17
	;; [unrolled: 1-line block ×3, first 2 shown]
	v_add_f32_e32 v40, v7, v19
	v_sub_f32_e32 v41, v7, v19
	v_add_f32_e32 v7, v23, v15
	v_sub_f32_e32 v23, v19, v15
	v_add_f32_e32 v24, v11, v24
	v_add_f32_e32 v11, v35, v25
	;; [unrolled: 1-line block ×3, first 2 shown]
	v_fma_f32 v26, -0.5, v33, v2
	v_sub_f32_e32 v15, v15, v19
	v_add_f32_e32 v19, v7, v19
	v_add_f32_e32 v23, v29, v23
	v_mov_b32_e32 v7, v26
	v_fma_f32 v29, -0.5, v37, v3
	v_sub_f32_e32 v16, v16, v20
	v_add_f32_e32 v20, v8, v20
	v_fmac_f32_e32 v7, 0x3f737871, v43
	v_mov_b32_e32 v8, v29
	v_fma_f32 v27, -0.5, v27, v0
	v_fma_f32 v31, -0.5, v31, v1
	v_sub_f32_e32 v13, v13, v17
	v_fmac_f32_e32 v7, 0x3f167918, v34
	v_fmac_f32_e32 v8, 0xbf737871, v45
	v_mov_b32_e32 v37, v27
	v_mov_b32_e32 v38, v31
	v_fmac_f32_e32 v7, 0x3e9e377a, v11
	v_fmac_f32_e32 v8, 0xbf167918, v13
	;; [unrolled: 1-line block ×5, first 2 shown]
	v_mul_f32_e32 v33, 0x3f4f1bbd, v7
	v_mul_f32_e32 v35, 0xbf167918, v7
	v_fmac_f32_e32 v37, 0x3f167918, v28
	v_fmac_f32_e32 v38, 0xbf167918, v32
	v_sub_f32_e32 v17, v17, v21
	v_sub_f32_e32 v18, v18, v22
	v_add_f32_e32 v21, v9, v21
	v_add_f32_e32 v22, v10, v22
	v_fmac_f32_e32 v33, 0x3f167918, v8
	v_fmac_f32_e32 v35, 0x3f4f1bbd, v8
	;; [unrolled: 1-line block ×4, first 2 shown]
	v_add_f32_e32 v7, v19, v21
	v_add_f32_e32 v9, v37, v33
	;; [unrolled: 1-line block ×4, first 2 shown]
	s_barrier
	ds_write_b128 v96, v[7:10]
	v_fma_f32 v10, -0.5, v40, v0
	v_fma_f32 v0, -0.5, v44, v2
	v_fmac_f32_e32 v3, -0.5, v46
	v_add_f32_e32 v8, v14, v18
	v_fma_f32 v14, -0.5, v42, v1
	v_mov_b32_e32 v1, v0
	v_fmac_f32_e32 v0, 0x3f737871, v34
	v_add_f32_e32 v7, v36, v17
	v_fmac_f32_e32 v0, 0xbf167918, v43
	v_mov_b32_e32 v2, v3
	v_fmac_f32_e32 v3, 0xbf737871, v13
	v_fmac_f32_e32 v0, 0x3e9e377a, v7
	;; [unrolled: 1-line block ×4, first 2 shown]
	v_mul_f32_e32 v9, 0x3e9e377a, v0
	v_fma_f32 v17, v3, s0, -v9
	v_add_f32_e32 v9, v30, v15
	v_mov_b32_e32 v15, v10
	v_fmac_f32_e32 v15, 0xbf737871, v28
	v_fmac_f32_e32 v10, 0x3f737871, v28
	;; [unrolled: 1-line block ×8, first 2 shown]
	v_add_f32_e32 v9, v12, v16
	v_mov_b32_e32 v12, v14
	v_fmac_f32_e32 v1, 0x3f167918, v43
	v_fmac_f32_e32 v2, 0xbf167918, v45
	;; [unrolled: 1-line block ×6, first 2 shown]
	v_mul_f32_e32 v3, 0x3e9e377a, v3
	v_fmac_f32_e32 v12, 0xbf167918, v41
	v_fmac_f32_e32 v14, 0x3f167918, v41
	v_mul_f32_e32 v7, 0x3f737871, v2
	v_mul_f32_e32 v8, 0xbf737871, v1
	s_mov_b32 s0, 0xbf737871
	v_fmac_f32_e32 v26, 0xbf737871, v43
	v_fmac_f32_e32 v12, 0x3e9e377a, v9
	;; [unrolled: 1-line block ×5, first 2 shown]
	v_fma_f32 v16, v0, s0, -v3
	v_fmac_f32_e32 v26, 0xbf167918, v34
	v_fmac_f32_e32 v29, 0x3f737871, v45
	v_add_f32_e32 v0, v15, v7
	v_add_f32_e32 v2, v10, v17
	;; [unrolled: 1-line block ×4, first 2 shown]
	v_fmac_f32_e32 v26, 0x3e9e377a, v11
	v_fmac_f32_e32 v29, 0x3f167918, v13
	ds_write_b128 v96, v[0:3] offset:16
	v_fmac_f32_e32 v27, 0xbf737871, v39
	v_fmac_f32_e32 v29, 0x3e9e377a, v25
	s_mov_b32 s0, 0x3f167918
	v_mul_f32_e32 v1, 0x3f4f1bbd, v26
	v_fmac_f32_e32 v31, 0x3f737871, v41
	v_fmac_f32_e32 v27, 0xbf167918, v28
	v_fma_f32 v1, v29, s0, -v1
	v_sub_f32_e32 v3, v12, v8
	v_fmac_f32_e32 v31, 0x3f167918, v32
	s_mov_b32 s0, 0xbf167918
	v_mul_f32_e32 v8, 0x3f4f1bbd, v29
	v_fmac_f32_e32 v27, 0x3e9e377a, v23
	v_sub_f32_e32 v12, v14, v16
	v_fmac_f32_e32 v31, 0x3e9e377a, v24
	v_fma_f32 v14, v26, s0, -v8
	v_sub_f32_e32 v0, v37, v33
	v_sub_f32_e32 v2, v15, v7
	;; [unrolled: 1-line block ×3, first 2 shown]
	v_add_f32_e32 v7, v27, v1
	v_sub_f32_e32 v11, v10, v17
	v_sub_f32_e32 v10, v20, v22
	v_add_f32_e32 v8, v31, v14
	s_movk_i32 s0, 0xcd
	v_sub_f32_e32 v13, v27, v1
	v_sub_f32_e32 v1, v38, v35
	;; [unrolled: 1-line block ×3, first 2 shown]
	ds_write_b128 v96, v[7:10] offset:32
	ds_write_b128 v96, v[0:3] offset:48
	;; [unrolled: 1-line block ×3, first 2 shown]
	v_mul_lo_u16_sdwa v0, v94, s0 dst_sel:DWORD dst_unused:UNUSED_PAD src0_sel:BYTE_0 src1_sel:DWORD
	v_lshrrev_b16_e32 v7, 11, v0
	v_mul_lo_u16_e32 v0, 10, v7
	v_sub_u16_e32 v0, v94, v0
	v_and_b32_e32 v36, 0xff, v0
	v_lshlrev_b32_e32 v20, 5, v36
	s_waitcnt lgkmcnt(0)
	s_barrier
	v_add_u16_e32 v0, 0x55, v94
	global_load_dwordx4 v[8:11], v20, s[14:15]
	v_mul_lo_u16_sdwa v1, v0, s0 dst_sel:DWORD dst_unused:UNUSED_PAD src0_sel:BYTE_0 src1_sel:DWORD
	v_lshrrev_b16_e32 v37, 11, v1
	v_mul_lo_u16_e32 v1, 10, v37
	v_sub_u16_e32 v0, v0, v1
	v_and_b32_e32 v46, 0xff, v0
	v_lshlrev_b32_e32 v21, 5, v46
	global_load_dwordx4 v[0:3], v21, s[14:15]
	global_load_dwordx4 v[16:19], v20, s[14:15] offset:16
	global_load_dwordx4 v[12:15], v21, s[14:15] offset:16
	ds_read2_b64 v[20:23], v93 offset0:170 offset1:255
	ds_read2_b64 v[38:41], v93 offset1:85
	v_mul_u32_u24_e32 v7, 50, v7
	v_add_lshl_u32 v97, v7, v36, 3
	v_mul_u32_u24_e32 v7, 50, v37
	v_add_lshl_u32 v153, v7, v46, 3
	v_cmp_gt_u16_e64 s[0:1], 50, v94
	s_waitcnt vmcnt(3) lgkmcnt(1)
	v_mul_f32_e32 v24, v21, v9
	v_fma_f32 v30, v20, v8, -v24
	ds_read2_b64 v[24:27], v4 offset0:84 offset1:169
	v_mul_f32_e32 v31, v20, v9
	v_fmac_f32_e32 v31, v21, v8
	s_waitcnt vmcnt(2)
	v_mul_f32_e32 v20, v23, v1
	v_fma_f32 v43, v22, v0, -v20
	v_mul_f32_e32 v45, v22, v1
	s_waitcnt lgkmcnt(0)
	v_mul_f32_e32 v20, v25, v11
	v_fmac_f32_e32 v45, v23, v0
	v_fma_f32 v33, v24, v10, -v20
	ds_read2_b64 v[20:23], v6 offset0:126 offset1:211
	v_mul_f32_e32 v42, v24, v11
	v_mul_f32_e32 v24, v27, v3
	v_fma_f32 v47, v26, v2, -v24
	v_mul_f32_e32 v52, v26, v3
	s_waitcnt vmcnt(1) lgkmcnt(0)
	v_mul_f32_e32 v24, v21, v17
	v_fmac_f32_e32 v42, v25, v10
	v_fmac_f32_e32 v52, v27, v2
	v_fma_f32 v35, v20, v16, -v24
	ds_read2_b64 v[24:27], v5 offset0:168 offset1:253
	v_mul_f32_e32 v20, v20, v17
	v_fmac_f32_e32 v20, v21, v16
	s_waitcnt vmcnt(0)
	v_mul_f32_e32 v21, v23, v13
	v_fma_f32 v21, v22, v12, -v21
	v_mul_f32_e32 v22, v22, v13
	v_fmac_f32_e32 v22, v23, v12
	s_waitcnt lgkmcnt(0)
	v_mul_f32_e32 v23, v25, v19
	v_fma_f32 v23, v24, v18, -v23
	v_mul_f32_e32 v24, v24, v19
	v_fmac_f32_e32 v24, v25, v18
	v_mul_f32_e32 v25, v27, v15
	v_fma_f32 v25, v26, v14, -v25
	v_mul_f32_e32 v26, v26, v15
	v_fmac_f32_e32 v26, v27, v14
	v_sub_f32_e32 v27, v30, v33
	v_sub_f32_e32 v28, v23, v35
	v_add_f32_e32 v27, v27, v28
	v_add_f32_e32 v28, v38, v30
	;; [unrolled: 1-line block ×6, first 2 shown]
	v_fma_f32 v28, -0.5, v29, v38
	v_mov_b32_e32 v50, v28
	v_sub_f32_e32 v29, v31, v24
	v_fmac_f32_e32 v50, 0x3f737871, v29
	v_sub_f32_e32 v44, v42, v20
	v_fmac_f32_e32 v28, 0xbf737871, v29
	v_fmac_f32_e32 v50, 0x3f167918, v44
	;; [unrolled: 1-line block ×5, first 2 shown]
	v_sub_f32_e32 v27, v33, v30
	v_sub_f32_e32 v32, v35, v23
	v_add_f32_e32 v27, v27, v32
	v_add_f32_e32 v32, v30, v23
	v_fma_f32 v34, -0.5, v32, v38
	v_mov_b32_e32 v32, v34
	v_fmac_f32_e32 v32, 0xbf737871, v44
	v_fmac_f32_e32 v34, 0x3f737871, v44
	;; [unrolled: 1-line block ×6, first 2 shown]
	v_add_f32_e32 v27, v39, v31
	v_add_f32_e32 v27, v27, v42
	;; [unrolled: 1-line block ×5, first 2 shown]
	v_fma_f32 v29, -0.5, v27, v39
	v_sub_f32_e32 v23, v30, v23
	v_mov_b32_e32 v51, v29
	v_sub_f32_e32 v27, v33, v35
	v_sub_f32_e32 v30, v31, v42
	;; [unrolled: 1-line block ×3, first 2 shown]
	v_fmac_f32_e32 v51, 0xbf737871, v23
	v_fmac_f32_e32 v29, 0x3f737871, v23
	v_add_f32_e32 v30, v30, v33
	v_fmac_f32_e32 v51, 0xbf167918, v27
	v_fmac_f32_e32 v29, 0x3f167918, v27
	v_fmac_f32_e32 v51, 0x3e9e377a, v30
	v_fmac_f32_e32 v29, 0x3e9e377a, v30
	v_add_f32_e32 v30, v31, v24
	v_fma_f32 v35, -0.5, v30, v39
	v_mov_b32_e32 v33, v35
	v_sub_f32_e32 v30, v42, v31
	v_sub_f32_e32 v20, v20, v24
	v_fmac_f32_e32 v33, 0x3f737871, v27
	v_fmac_f32_e32 v35, 0xbf737871, v27
	v_add_f32_e32 v20, v30, v20
	v_fmac_f32_e32 v33, 0xbf167918, v23
	v_fmac_f32_e32 v35, 0x3f167918, v23
	v_fmac_f32_e32 v33, 0x3e9e377a, v20
	v_fmac_f32_e32 v35, 0x3e9e377a, v20
	v_add_f32_e32 v20, v40, v43
	v_add_f32_e32 v20, v20, v47
	;; [unrolled: 1-line block ×4, first 2 shown]
	v_sub_f32_e32 v20, v43, v47
	v_sub_f32_e32 v23, v25, v21
	v_add_f32_e32 v20, v20, v23
	v_add_f32_e32 v23, v47, v21
	v_fma_f32 v54, -0.5, v23, v40
	v_sub_f32_e32 v24, v45, v26
	v_mov_b32_e32 v42, v54
	v_fmac_f32_e32 v42, 0x3f737871, v24
	v_sub_f32_e32 v23, v52, v22
	v_fmac_f32_e32 v54, 0xbf737871, v24
	v_fmac_f32_e32 v42, 0x3f167918, v23
	;; [unrolled: 1-line block ×5, first 2 shown]
	v_add_f32_e32 v20, v43, v25
	v_fma_f32 v40, -0.5, v20, v40
	v_mov_b32_e32 v44, v40
	v_sub_f32_e32 v20, v47, v43
	v_sub_f32_e32 v27, v21, v25
	v_fmac_f32_e32 v44, 0xbf737871, v23
	v_fmac_f32_e32 v40, 0x3f737871, v23
	v_add_f32_e32 v20, v20, v27
	v_fmac_f32_e32 v44, 0x3f167918, v24
	v_fmac_f32_e32 v40, 0xbf167918, v24
	;; [unrolled: 1-line block ×4, first 2 shown]
	v_add_f32_e32 v20, v41, v45
	v_add_f32_e32 v20, v20, v52
	v_add_f32_e32 v20, v20, v22
	v_add_f32_e32 v31, v20, v26
	v_add_f32_e32 v20, v52, v22
	v_fma_f32 v55, -0.5, v20, v41
	v_sub_f32_e32 v20, v43, v25
	v_mov_b32_e32 v43, v55
	v_sub_f32_e32 v21, v47, v21
	v_sub_f32_e32 v23, v45, v52
	;; [unrolled: 1-line block ×3, first 2 shown]
	v_fmac_f32_e32 v43, 0xbf737871, v20
	v_fmac_f32_e32 v55, 0x3f737871, v20
	v_add_f32_e32 v23, v23, v24
	v_fmac_f32_e32 v43, 0xbf167918, v21
	v_fmac_f32_e32 v55, 0x3f167918, v21
	;; [unrolled: 1-line block ×4, first 2 shown]
	v_add_f32_e32 v23, v45, v26
	v_fmac_f32_e32 v41, -0.5, v23
	v_sub_f32_e32 v23, v52, v45
	v_mov_b32_e32 v45, v41
	v_sub_f32_e32 v22, v22, v26
	v_fmac_f32_e32 v45, 0x3f737871, v21
	v_fmac_f32_e32 v41, 0xbf737871, v21
	v_add_f32_e32 v22, v23, v22
	v_fmac_f32_e32 v45, 0xbf167918, v20
	v_fmac_f32_e32 v41, 0x3f167918, v20
	;; [unrolled: 1-line block ×4, first 2 shown]
	s_barrier
	ds_write2_b64 v97, v[48:49], v[50:51] offset1:10
	ds_write2_b64 v97, v[32:33], v[34:35] offset0:20 offset1:30
	ds_write_b64 v97, v[28:29] offset:320
	ds_write2_b64 v153, v[30:31], v[42:43] offset1:10
	ds_write2_b64 v153, v[44:45], v[40:41] offset0:20 offset1:30
	ds_write_b64 v153, v[54:55] offset:320
	s_waitcnt lgkmcnt(0)
	s_barrier
	s_and_saveexec_b64 s[2:3], s[0:1]
	s_cbranch_execz .LBB0_3
; %bb.2:
	ds_read2_b64 v[48:51], v93 offset1:50
	ds_read2_b64 v[32:35], v93 offset0:100 offset1:150
	ds_read2_b64 v[28:31], v93 offset0:200 offset1:250
	;; [unrolled: 1-line block ×7, first 2 shown]
	ds_read_b64 v[68:69], v93 offset:6400
	s_waitcnt lgkmcnt(4)
	v_mov_b32_e32 v40, v52
	v_mov_b32_e32 v41, v53
.LBB0_3:
	s_or_b64 exec, exec, s[2:3]
	v_lshlrev_b32_e32 v4, 4, v94
	s_movk_i32 s2, 0xfce0
	v_add_co_u32_e64 v6, s[2:3], s2, v4
	v_addc_co_u32_e64 v5, s[2:3], 0, -1, s[2:3]
	v_cndmask_b32_e64 v5, v5, 0, s[0:1]
	v_cndmask_b32_e64 v4, v6, v4, s[0:1]
	v_lshlrev_b64 v[4:5], 3, v[4:5]
	s_mov_b32 s6, 0x3f6eb680
	v_add_co_u32_e64 v52, s[2:3], s14, v4
	v_mov_b32_e32 v4, s15
	v_addc_co_u32_e64 v53, s[2:3], v4, v5, s[2:3]
	global_load_dwordx4 v[4:7], v[52:53], off offset:368
	global_load_dwordx4 v[20:23], v[52:53], off offset:352
	;; [unrolled: 1-line block ×4, first 2 shown]
	s_mov_b32 s7, 0x3f3d2fb0
	s_mov_b32 s14, 0x3dbcf732
	s_mov_b32 s12, 0x3ee437d1
	s_mov_b32 s16, 0xbf1a4643
	s_mov_b32 s18, 0xbf7ba420
	s_mov_b32 s15, 0xbe8c1d8e
	s_mov_b32 s17, 0xbf59a7d5
	s_waitcnt vmcnt(3)
	v_mul_f32_e32 v113, v44, v5
	s_waitcnt vmcnt(2)
	v_mul_f32_e32 v111, v30, v21
	;; [unrolled: 2-line block ×4, first 2 shown]
	v_fma_f32 v99, v50, v36, -v46
	v_mul_f32_e32 v46, v33, v39
	v_fma_f32 v100, v32, v38, -v46
	v_mul_f32_e32 v107, v32, v39
	v_mul_f32_e32 v32, v35, v25
	v_fma_f32 v101, v34, v24, -v32
	v_mul_f32_e32 v32, v29, v27
	v_fma_f32 v102, v28, v26, -v32
	;; [unrolled: 2-line block ×4, first 2 shown]
	v_mul_f32_e32 v28, v45, v5
	v_mul_f32_e32 v109, v34, v25
	;; [unrolled: 1-line block ×3, first 2 shown]
	v_fma_f32 v182, v44, v4, -v28
	v_mul_f32_e32 v28, v41, v7
	v_mul_f32_e32 v114, v40, v7
	v_fmac_f32_e32 v107, v33, v38
	v_fmac_f32_e32 v109, v35, v24
	;; [unrolled: 1-line block ×6, first 2 shown]
	v_fma_f32 v218, v40, v6, -v28
	v_fmac_f32_e32 v114, v41, v6
	global_load_dwordx4 v[40:43], v[52:53], off offset:432
	global_load_dwordx4 v[32:35], v[52:53], off offset:416
	;; [unrolled: 1-line block ×4, first 2 shown]
	v_mul_f32_e32 v105, v50, v37
	v_fmac_f32_e32 v105, v51, v36
	s_waitcnt vmcnt(3) lgkmcnt(0)
	v_mul_f32_e32 v124, v68, v43
	s_waitcnt vmcnt(2)
	v_mul_f32_e32 v121, v62, v33
	s_waitcnt vmcnt(1)
	;; [unrolled: 2-line block ×3, first 2 shown]
	v_mul_f32_e32 v50, v55, v45
	v_fma_f32 v115, v54, v44, -v50
	v_mul_f32_e32 v50, v65, v47
	v_fma_f32 v74, v64, v46, -v50
	v_mul_f32_e32 v50, v67, v29
	v_mul_f32_e32 v118, v64, v47
	v_fma_f32 v64, v66, v28, -v50
	v_mul_f32_e32 v50, v61, v31
	v_fma_f32 v214, v60, v30, -v50
	;; [unrolled: 2-line block ×4, first 2 shown]
	v_mul_f32_e32 v50, v59, v41
	v_mul_f32_e32 v123, v58, v41
	v_fmac_f32_e32 v124, v69, v42
	v_fmac_f32_e32 v121, v63, v32
	v_fma_f32 v63, v58, v40, -v50
	v_fmac_f32_e32 v123, v59, v40
	v_mul_f32_e32 v50, v69, v43
	v_sub_f32_e32 v137, v105, v124
	v_fma_f32 v120, v68, v42, -v50
	v_mul_f32_e32 v73, 0xbeb8f4ab, v137
	v_sub_f32_e32 v174, v107, v123
	v_add_f32_e32 v68, v99, v120
	v_sub_f32_e32 v141, v99, v120
	v_mov_b32_e32 v50, v73
	v_mul_f32_e32 v150, 0xbf2c7751, v174
	v_add_f32_e32 v69, v105, v124
	v_mul_f32_e32 v116, 0xbeb8f4ab, v141
	v_fmac_f32_e32 v50, 0x3f6eb680, v68
	v_add_f32_e32 v129, v100, v63
	v_sub_f32_e32 v179, v100, v63
	v_mov_b32_e32 v125, v150
	v_add_f32_e32 v50, v48, v50
	v_fma_f32 v51, v69, s6, -v116
	v_mul_f32_e32 v144, 0xbf2c7751, v137
	v_add_f32_e32 v131, v107, v123
	v_mul_f32_e32 v151, 0xbf2c7751, v179
	v_fmac_f32_e32 v125, 0x3f3d2fb0, v129
	v_add_f32_e32 v51, v49, v51
	v_mov_b32_e32 v52, v144
	v_add_f32_e32 v50, v125, v50
	v_fma_f32 v125, v131, s7, -v151
	v_mul_f32_e32 v154, 0xbf7ee86f, v174
	v_mul_f32_e32 v146, 0xbf2c7751, v141
	v_fmac_f32_e32 v52, 0x3f3d2fb0, v68
	v_add_f32_e32 v51, v125, v51
	v_mov_b32_e32 v125, v154
	v_add_f32_e32 v52, v48, v52
	v_fma_f32 v53, v69, s7, -v146
	v_mul_f32_e32 v147, 0xbf65296c, v137
	v_mul_f32_e32 v155, 0xbf7ee86f, v179
	v_fmac_f32_e32 v125, 0x3dbcf732, v129
	v_mul_f32_e32 v117, v54, v45
	v_add_f32_e32 v53, v49, v53
	v_mov_b32_e32 v54, v147
	v_add_f32_e32 v52, v125, v52
	v_fma_f32 v125, v131, s14, -v155
	v_mul_f32_e32 v156, 0xbf4c4adb, v174
	v_mul_f32_e32 v148, 0xbf65296c, v141
	v_fmac_f32_e32 v54, 0x3ee437d1, v68
	v_add_f32_e32 v53, v125, v53
	v_mov_b32_e32 v125, v156
	v_fmac_f32_e32 v117, v55, v44
	v_add_f32_e32 v54, v48, v54
	v_fma_f32 v55, v69, s12, -v148
	v_mul_f32_e32 v149, 0xbf7ee86f, v137
	v_mul_f32_e32 v158, 0xbf4c4adb, v179
	v_fmac_f32_e32 v125, 0xbf1a4643, v129
	v_mul_f32_e32 v122, v56, v35
	v_add_f32_e32 v55, v49, v55
	v_mov_b32_e32 v56, v149
	v_add_f32_e32 v54, v125, v54
	v_fma_f32 v125, v131, s16, -v158
	v_mul_f32_e32 v159, 0xbe3c28d5, v174
	v_mul_f32_e32 v98, 0xbf7ee86f, v141
	v_fmac_f32_e32 v56, 0x3dbcf732, v68
	v_add_f32_e32 v55, v125, v55
	v_mov_b32_e32 v125, v159
	v_fmac_f32_e32 v122, v57, v34
	v_add_f32_e32 v56, v48, v56
	v_fma_f32 v57, v69, s14, -v98
	v_mul_f32_e32 v152, 0xbf763a35, v137
	v_mul_f32_e32 v162, 0xbe3c28d5, v179
	v_fmac_f32_e32 v125, 0xbf7ba420, v129
	v_add_f32_e32 v57, v49, v57
	v_mov_b32_e32 v58, v152
	v_add_f32_e32 v56, v125, v56
	v_fma_f32 v125, v131, s18, -v162
	v_mul_f32_e32 v164, 0x3f06c442, v174
	v_mul_f32_e32 v200, 0xbf763a35, v141
	v_fmac_f32_e32 v58, 0xbe8c1d8e, v68
	v_add_f32_e32 v57, v125, v57
	v_mov_b32_e32 v125, v164
	v_add_f32_e32 v58, v48, v58
	v_fma_f32 v59, v69, s15, -v200
	v_mul_f32_e32 v190, 0xbf4c4adb, v137
	v_mul_f32_e32 v202, 0x3f06c442, v179
	v_fmac_f32_e32 v125, 0xbf59a7d5, v129
	v_fmac_f32_e32 v119, v67, v28
	v_mul_f32_e32 v67, v60, v31
	v_add_f32_e32 v59, v49, v59
	v_mov_b32_e32 v60, v190
	v_add_f32_e32 v58, v125, v58
	v_fma_f32 v125, v131, s17, -v202
	v_mul_f32_e32 v191, 0x3f763a35, v174
	v_mul_f32_e32 v187, 0xbf4c4adb, v141
	v_fmac_f32_e32 v60, 0xbf1a4643, v68
	v_add_f32_e32 v59, v125, v59
	v_mov_b32_e32 v125, v191
	v_fmac_f32_e32 v67, v61, v30
	v_add_f32_e32 v60, v48, v60
	v_fma_f32 v61, v69, s16, -v187
	v_mul_f32_e32 v185, 0xbf06c442, v137
	v_mul_f32_e32 v188, 0x3f763a35, v179
	v_fmac_f32_e32 v125, 0xbe8c1d8e, v129
	v_add_f32_e32 v61, v49, v61
	v_mov_b32_e32 v91, v185
	v_add_f32_e32 v60, v125, v60
	v_fma_f32 v125, v131, s15, -v188
	v_mul_f32_e32 v186, 0x3f65296c, v174
	v_mul_f32_e32 v184, 0xbf06c442, v141
	v_fmac_f32_e32 v91, 0xbf59a7d5, v68
	v_add_f32_e32 v61, v125, v61
	v_mov_b32_e32 v125, v186
	v_add_f32_e32 v91, v48, v91
	v_fma_f32 v92, v69, s17, -v184
	v_mul_f32_e32 v195, 0x3f65296c, v179
	v_fmac_f32_e32 v125, 0x3ee437d1, v129
	v_sub_f32_e32 v193, v109, v122
	v_add_f32_e32 v92, v49, v92
	v_add_f32_e32 v91, v125, v91
	v_fma_f32 v125, v131, s12, -v195
	v_mul_f32_e32 v161, 0xbf65296c, v193
	v_add_f32_e32 v92, v125, v92
	v_add_f32_e32 v143, v101, v62
	v_sub_f32_e32 v198, v101, v62
	v_mov_b32_e32 v125, v161
	v_add_f32_e32 v145, v109, v122
	v_mul_f32_e32 v163, 0xbf65296c, v198
	v_fmac_f32_e32 v125, 0x3ee437d1, v143
	v_add_f32_e32 v50, v125, v50
	v_fma_f32 v125, v145, s12, -v163
	v_mul_f32_e32 v165, 0xbf4c4adb, v193
	v_add_f32_e32 v51, v125, v51
	v_mov_b32_e32 v125, v165
	v_mul_f32_e32 v166, 0xbf4c4adb, v198
	v_fmac_f32_e32 v125, 0xbf1a4643, v143
	v_add_f32_e32 v52, v125, v52
	v_fma_f32 v125, v145, s16, -v166
	v_mul_f32_e32 v167, 0x3e3c28d5, v193
	v_add_f32_e32 v53, v125, v53
	v_mov_b32_e32 v125, v167
	v_mul_f32_e32 v168, 0x3e3c28d5, v198
	v_fmac_f32_e32 v125, 0xbf7ba420, v143
	v_add_f32_e32 v54, v125, v54
	v_fma_f32 v125, v145, s18, -v168
	v_mul_f32_e32 v169, 0x3f763a35, v193
	v_add_f32_e32 v55, v125, v55
	v_mov_b32_e32 v125, v169
	v_mul_f32_e32 v170, 0x3f763a35, v198
	v_fmac_f32_e32 v125, 0xbe8c1d8e, v143
	v_add_f32_e32 v56, v125, v56
	v_fma_f32 v125, v145, s15, -v170
	v_mul_f32_e32 v172, 0x3f2c7751, v193
	v_add_f32_e32 v57, v125, v57
	v_mov_b32_e32 v125, v172
	v_mul_f32_e32 v173, 0x3f2c7751, v198
	v_fmac_f32_e32 v125, 0x3f3d2fb0, v143
	v_add_f32_e32 v58, v125, v58
	v_fma_f32 v125, v145, s7, -v173
	v_mul_f32_e32 v194, 0xbeb8f4ab, v193
	v_add_f32_e32 v59, v125, v59
	v_mov_b32_e32 v125, v194
	v_mul_f32_e32 v199, 0xbeb8f4ab, v198
	v_fmac_f32_e32 v125, 0x3f6eb680, v143
	v_add_f32_e32 v60, v125, v60
	v_fma_f32 v125, v145, s6, -v199
	v_mul_f32_e32 v189, 0xbf7ee86f, v193
	v_add_f32_e32 v61, v125, v61
	v_mov_b32_e32 v125, v189
	v_mul_f32_e32 v196, 0xbf7ee86f, v198
	v_fmac_f32_e32 v125, 0x3dbcf732, v143
	v_sub_f32_e32 v211, v110, v121
	v_add_f32_e32 v91, v125, v91
	v_fma_f32 v125, v145, s14, -v196
	v_mul_f32_e32 v142, 0xbf7ee86f, v211
	v_add_f32_e32 v92, v125, v92
	v_add_f32_e32 v157, v102, v66
	v_sub_f32_e32 v216, v102, v66
	v_mov_b32_e32 v125, v142
	v_add_f32_e32 v160, v110, v121
	v_mul_f32_e32 v249, 0xbf7ee86f, v216
	v_fmac_f32_e32 v125, 0x3dbcf732, v157
	v_add_f32_e32 v50, v125, v50
	v_fma_f32 v125, v160, s14, -v249
	v_mul_f32_e32 v239, 0xbe3c28d5, v211
	v_add_f32_e32 v51, v125, v51
	v_mov_b32_e32 v125, v239
	v_mul_f32_e32 v176, 0xbe3c28d5, v216
	v_fmac_f32_e32 v125, 0xbf7ba420, v157
	v_add_f32_e32 v52, v125, v52
	v_fma_f32 v125, v160, s18, -v176
	v_mul_f32_e32 v177, 0x3f763a35, v211
	v_add_f32_e32 v53, v125, v53
	v_mov_b32_e32 v125, v177
	v_mul_f32_e32 v180, 0x3f763a35, v216
	v_fmac_f32_e32 v125, 0xbe8c1d8e, v157
	v_add_f32_e32 v54, v125, v54
	v_fma_f32 v125, v160, s15, -v180
	v_mul_f32_e32 v181, 0x3eb8f4ab, v211
	v_add_f32_e32 v55, v125, v55
	v_mov_b32_e32 v125, v181
	v_mul_f32_e32 v183, 0x3eb8f4ab, v216
	v_fmac_f32_e32 v125, 0x3f6eb680, v157
	v_add_f32_e32 v56, v125, v56
	v_fma_f32 v125, v160, s6, -v183
	v_mul_f32_e32 v204, 0xbf65296c, v211
	v_add_f32_e32 v57, v125, v57
	v_mov_b32_e32 v125, v204
	v_mul_f32_e32 v205, 0xbf65296c, v216
	v_fmac_f32_e32 v125, 0x3ee437d1, v157
	v_add_f32_e32 v58, v125, v58
	v_fma_f32 v125, v160, s12, -v205
	v_mul_f32_e32 v209, 0xbf06c442, v211
	v_add_f32_e32 v59, v125, v59
	v_mov_b32_e32 v125, v209
	v_mul_f32_e32 v201, 0xbf06c442, v216
	v_fmac_f32_e32 v125, 0xbf59a7d5, v157
	v_add_f32_e32 v60, v125, v60
	v_fma_f32 v125, v160, s17, -v201
	v_mul_f32_e32 v207, 0x3f4c4adb, v211
	v_add_f32_e32 v61, v125, v61
	v_mov_b32_e32 v125, v207
	v_mul_f32_e32 v213, 0x3f4c4adb, v216
	v_fmac_f32_e32 v125, 0xbf1a4643, v157
	v_sub_f32_e32 v229, v111, v67
	;; [unrolled: 53-line block ×3, first 2 shown]
	v_add_f32_e32 v91, v125, v91
	v_fma_f32 v125, v178, s6, -v231
	v_mul_f32_e32 v221, 0xbf4c4adb, v244
	v_add_f32_e32 v92, v125, v92
	v_add_f32_e32 v192, v104, v64
	v_sub_f32_e32 v247, v104, v64
	v_mov_b32_e32 v125, v221
	v_add_f32_e32 v197, v112, v119
	v_mul_f32_e32 v222, 0xbf4c4adb, v247
	v_fmac_f32_e32 v125, 0xbf1a4643, v192
	v_fmac_f32_e32 v118, v65, v46
	v_add_f32_e32 v50, v125, v50
	v_fma_f32 v125, v197, s16, -v222
	v_mul_f32_e32 v65, 0x3f763a35, v244
	v_add_f32_e32 v51, v125, v51
	v_mov_b32_e32 v125, v65
	v_mul_f32_e32 v226, 0x3f763a35, v247
	v_fmac_f32_e32 v125, 0xbe8c1d8e, v192
	v_add_f32_e32 v52, v125, v52
	v_fma_f32 v125, v197, s15, -v226
	v_mul_f32_e32 v232, 0xbeb8f4ab, v244
	v_add_f32_e32 v53, v125, v53
	v_mov_b32_e32 v125, v232
	v_mul_f32_e32 v203, 0xbeb8f4ab, v247
	;; [unrolled: 7-line block ×3, first 2 shown]
	v_fmac_f32_e32 v125, 0xbf59a7d5, v192
	v_add_f32_e32 v56, v125, v56
	v_fma_f32 v125, v197, s17, -v139
	v_add_f32_e32 v57, v125, v57
	v_mul_f32_e32 v125, 0x3f7ee86f, v244
	v_mul_f32_e32 v126, 0x3f7ee86f, v247
	buffer_store_dword v125, off, s[20:23], 0 ; 4-byte Folded Spill
	v_fmac_f32_e32 v125, 0x3dbcf732, v192
	v_add_f32_e32 v58, v125, v58
	v_fma_f32 v125, v197, s14, -v126
	v_mul_f32_e32 v230, 0xbf2c7751, v244
	v_add_f32_e32 v59, v125, v59
	v_mov_b32_e32 v125, v230
	v_mul_f32_e32 v236, 0xbf2c7751, v247
	v_fmac_f32_e32 v125, 0x3f3d2fb0, v192
	v_add_f32_e32 v60, v125, v60
	v_fma_f32 v125, v197, s7, -v236
	v_mul_f32_e32 v242, 0xbe3c28d5, v244
	v_add_f32_e32 v61, v125, v61
	v_mov_b32_e32 v125, v242
	v_mul_f32_e32 v246, 0xbe3c28d5, v247
	v_fmac_f32_e32 v125, 0xbf7ba420, v192
	v_sub_f32_e32 v252, v113, v118
	v_add_f32_e32 v91, v125, v91
	v_fma_f32 v125, v197, s18, -v246
	v_mul_f32_e32 v220, 0xbf06c442, v252
	v_add_f32_e32 v92, v125, v92
	v_add_f32_e32 v210, v182, v74
	v_sub_f32_e32 v254, v182, v74
	v_mov_b32_e32 v125, v220
	v_add_f32_e32 v215, v113, v118
	v_mul_f32_e32 v243, 0xbf06c442, v254
	v_fmac_f32_e32 v125, 0xbf59a7d5, v210
	v_add_f32_e32 v50, v125, v50
	v_fma_f32 v125, v215, s17, -v243
	v_add_f32_e32 v51, v125, v51
	v_mul_f32_e32 v125, 0x3f65296c, v252
	buffer_store_dword v126, off, s[20:23], 0 offset:4 ; 4-byte Folded Spill
	v_mul_f32_e32 v126, 0x3f65296c, v254
	buffer_store_dword v125, off, s[20:23], 0 offset:8 ; 4-byte Folded Spill
	v_fmac_f32_e32 v125, 0x3ee437d1, v210
	v_add_f32_e32 v52, v125, v52
	v_fma_f32 v125, v215, s12, -v126
	v_add_f32_e32 v53, v125, v53
	v_mul_f32_e32 v125, 0xbf7ee86f, v252
	buffer_store_dword v126, off, s[20:23], 0 offset:12 ; 4-byte Folded Spill
	v_mul_f32_e32 v126, 0xbf7ee86f, v254
	buffer_store_dword v125, off, s[20:23], 0 offset:16 ; 4-byte Folded Spill
	v_fmac_f32_e32 v125, 0x3dbcf732, v210
	v_add_f32_e32 v127, v125, v54
	v_fma_f32 v54, v215, s14, -v126
	v_add_f32_e32 v130, v54, v55
	v_mul_f32_e32 v54, 0x3f4c4adb, v252
	v_mul_f32_e32 v55, 0x3f4c4adb, v254
	buffer_store_dword v54, off, s[20:23], 0 offset:24 ; 4-byte Folded Spill
	v_fmac_f32_e32 v54, 0xbf1a4643, v210
	v_add_f32_e32 v56, v54, v56
	v_fma_f32 v54, v215, s16, -v55
	v_add_f32_e32 v57, v54, v57
	v_mul_f32_e32 v54, 0xbeb8f4ab, v252
	buffer_store_dword v54, off, s[20:23], 0 offset:36 ; 4-byte Folded Spill
	v_fmac_f32_e32 v54, 0x3f6eb680, v210
	v_mul_f32_e32 v245, 0xbe3c28d5, v252
	v_add_f32_e32 v54, v54, v58
	v_mov_b32_e32 v58, v245
	v_mul_f32_e32 v248, 0xbe3c28d5, v254
	v_fmac_f32_e32 v58, 0xbf7ba420, v210
	v_add_f32_e32 v60, v58, v60
	v_fma_f32 v58, v215, s18, -v248
	v_mul_f32_e32 v251, 0x3f2c7751, v252
	buffer_store_dword v55, off, s[20:23], 0 offset:28 ; 4-byte Folded Spill
	v_mul_f32_e32 v55, 0xbeb8f4ab, v254
	v_add_f32_e32 v61, v58, v61
	v_mov_b32_e32 v58, v251
	buffer_store_dword v55, off, s[20:23], 0 offset:44 ; 4-byte Folded Spill
	v_fma_f32 v55, v215, s6, -v55
	v_mul_f32_e32 v253, 0x3f2c7751, v254
	v_fmac_f32_e32 v58, 0x3f3d2fb0, v210
	v_sub_f32_e32 v125, v114, v117
	v_add_f32_e32 v55, v55, v59
	v_add_f32_e32 v58, v58, v91
	v_fma_f32 v59, v215, s7, -v253
	v_add_f32_e32 v228, v218, v115
	v_sub_f32_e32 v128, v218, v115
	v_mul_f32_e32 v91, 0xbe3c28d5, v125
	v_add_f32_e32 v59, v59, v92
	v_add_f32_e32 v233, v114, v117
	v_mul_f32_e32 v92, 0xbe3c28d5, v128
	buffer_store_dword v91, off, s[20:23], 0 offset:32 ; 4-byte Folded Spill
	v_fmac_f32_e32 v91, 0xbf7ba420, v228
	v_add_f32_e32 v91, v91, v50
	v_fma_f32 v50, v233, s18, -v92
	v_mul_f32_e32 v240, 0x3eb8f4ab, v125
	buffer_store_dword v92, off, s[20:23], 0 offset:40 ; 4-byte Folded Spill
	v_add_f32_e32 v92, v50, v51
	v_mov_b32_e32 v50, v240
	v_mul_f32_e32 v250, 0x3eb8f4ab, v128
	v_fmac_f32_e32 v50, 0x3f6eb680, v228
	v_add_f32_e32 v52, v50, v52
	v_fma_f32 v50, v233, s6, -v250
	v_mul_f32_e32 v255, 0xbf06c442, v125
	v_add_f32_e32 v53, v50, v53
	v_mov_b32_e32 v50, v255
	buffer_store_dword v126, off, s[20:23], 0 offset:20 ; 4-byte Folded Spill
	v_mul_f32_e32 v126, 0xbf06c442, v128
	v_fmac_f32_e32 v50, 0xbf59a7d5, v228
	v_add_f32_e32 v50, v50, v127
	v_fma_f32 v51, v233, s17, -v126
	v_mul_f32_e32 v127, 0x3f2c7751, v125
	v_add_f32_e32 v51, v51, v130
	v_mov_b32_e32 v130, v127
	v_mul_f32_e32 v132, 0x3f2c7751, v128
	v_fmac_f32_e32 v130, 0x3f3d2fb0, v228
	v_add_f32_e32 v56, v130, v56
	v_fma_f32 v130, v233, s7, -v132
	v_add_f32_e32 v57, v130, v57
	v_mul_f32_e32 v130, 0xbf4c4adb, v125
	v_mov_b32_e32 v133, v130
	v_mul_f32_e32 v134, 0xbf4c4adb, v128
	v_fmac_f32_e32 v133, 0xbf1a4643, v228
	v_add_f32_e32 v54, v133, v54
	v_fma_f32 v133, v233, s16, -v134
	v_add_f32_e32 v55, v133, v55
	v_mul_f32_e32 v133, 0x3f65296c, v125
	;; [unrolled: 7-line block ×3, first 2 shown]
	v_mov_b32_e32 v140, v135
	v_mul_f32_e32 v138, 0xbf763a35, v128
	v_fmac_f32_e32 v140, 0xbe8c1d8e, v228
	v_add_f32_e32 v58, v140, v58
	v_fma_f32 v140, v233, s15, -v138
	v_add_f32_e32 v59, v140, v59
	s_and_saveexec_b64 s[2:3], s[0:1]
	s_cbranch_execz .LBB0_5
; %bb.4:
	buffer_store_dword v116, off, s[20:23], 0 offset:124 ; 4-byte Folded Spill
	buffer_store_dword v73, off, s[20:23], 0 offset:116 ; 4-byte Folded Spill
	;; [unrolled: 1-line block ×18, first 2 shown]
	v_mov_b32_e32 v241, v180
	v_mul_f32_e32 v180, 0xbe3c28d5, v141
	v_mov_b32_e32 v140, v180
	v_mul_f32_e32 v179, 0x3eb8f4ab, v179
	v_fmac_f32_e32 v140, 0xbf7ba420, v69
	v_mov_b32_e32 v141, v179
	v_add_f32_e32 v140, v49, v140
	v_fmac_f32_e32 v141, 0x3f6eb680, v131
	v_mul_f32_e32 v198, 0xbf06c442, v198
	v_add_f32_e32 v140, v141, v140
	v_mov_b32_e32 v141, v198
	v_fmac_f32_e32 v141, 0xbf59a7d5, v145
	v_mul_f32_e32 v216, 0x3f2c7751, v216
	v_add_f32_e32 v140, v141, v140
	v_mov_b32_e32 v141, v216
	;; [unrolled: 4-line block ×4, first 2 shown]
	v_fmac_f32_e32 v141, 0x3ee437d1, v197
	v_mul_f32_e32 v254, 0xbf763a35, v254
	buffer_store_dword v243, off, s[20:23], 0 offset:144 ; 4-byte Folded Spill
	buffer_store_dword v206, off, s[20:23], 0 offset:168 ; 4-byte Folded Spill
	;; [unrolled: 1-line block ×12, first 2 shown]
	v_add_f32_e32 v140, v141, v140
	v_mov_b32_e32 v141, v254
	v_mul_f32_e32 v214, 0x3f7ee86f, v128
	v_fmac_f32_e32 v141, 0xbe8c1d8e, v215
	v_mov_b32_e32 v128, v214
	buffer_store_dword v249, off, s[20:23], 0 offset:184 ; 4-byte Folded Spill
	v_add_f32_e32 v140, v141, v140
	v_fmac_f32_e32 v128, 0x3dbcf732, v233
	v_mov_b32_e32 v249, v177
	v_mul_f32_e32 v177, 0xbe3c28d5, v137
	v_add_f32_e32 v141, v128, v140
	v_fma_f32 v128, v68, s18, -v177
	v_mul_f32_e32 v174, 0x3eb8f4ab, v174
	v_add_f32_e32 v128, v48, v128
	v_fma_f32 v137, v129, s6, -v174
	;; [unrolled: 3-line block ×4, first 2 shown]
	v_mul_f32_e32 v229, 0xbf4c4adb, v229
	v_mul_f32_e32 v104, 0xbf59a7d5, v69
	v_add_f32_e32 v128, v137, v128
	v_fma_f32 v137, v175, s16, -v229
	v_mul_f32_e32 v244, 0x3f65296c, v244
	v_mul_f32_e32 v115, 0x3ee437d1, v131
	v_add_f32_e32 v128, v137, v128
	v_fma_f32 v137, v192, s12, -v244
	v_mul_f32_e32 v252, 0xbf763a35, v252
	v_add_f32_e32 v104, v184, v104
	buffer_store_dword v142, off, s[20:23], 0 offset:156 ; 4-byte Folded Spill
	v_mov_b32_e32 v142, v170
	v_mul_f32_e32 v170, 0x3dbcf732, v145
	v_add_f32_e32 v128, v137, v128
	v_fma_f32 v137, v210, s15, -v252
	v_add_f32_e32 v115, v195, v115
	v_add_f32_e32 v104, v49, v104
	;; [unrolled: 1-line block ×6, first 2 shown]
	v_mul_f32_e32 v137, 0xbf1a4643, v160
	v_add_f32_e32 v137, v213, v137
	v_add_f32_e32 v104, v137, v104
	v_mul_f32_e32 v137, 0x3f6eb680, v178
	v_add_f32_e32 v137, v231, v137
	v_add_f32_e32 v104, v137, v104
	;; [unrolled: 3-line block ×3, first 2 shown]
	v_mul_f32_e32 v137, 0x3f3d2fb0, v215
	v_mul_f32_e32 v103, 0xbf59a7d5, v68
	v_add_f32_e32 v137, v253, v137
	v_mov_b32_e32 v97, v232
	v_mov_b32_e32 v232, v162
	v_mul_f32_e32 v162, 0x3ee437d1, v129
	v_add_f32_e32 v104, v137, v104
	v_mul_f32_e32 v137, 0xbe8c1d8e, v233
	v_sub_f32_e32 v103, v103, v185
	v_mov_b32_e32 v116, v169
	v_mul_f32_e32 v169, 0x3dbcf732, v143
	v_add_f32_e32 v137, v138, v137
	v_sub_f32_e32 v138, v162, v186
	v_add_f32_e32 v103, v48, v103
	v_mul_f32_e32 v231, 0xbf1a4643, v157
	v_add_f32_e32 v103, v138, v103
	v_sub_f32_e32 v138, v169, v189
	v_add_f32_e32 v103, v138, v103
	v_sub_f32_e32 v138, v231, v207
	v_add_f32_e32 v103, v138, v103
	v_mul_f32_e32 v138, 0x3f6eb680, v175
	v_sub_f32_e32 v138, v138, v224
	v_add_f32_e32 v103, v138, v103
	v_mul_f32_e32 v138, 0xbf7ba420, v192
	;; [unrolled: 3-line block ×4, first 2 shown]
	v_mov_b32_e32 v65, v148
	v_mul_f32_e32 v148, 0xbf1a4643, v69
	v_sub_f32_e32 v135, v138, v135
	v_mul_f32_e32 v163, 0xbe8c1d8e, v131
	v_add_f32_e32 v138, v137, v104
	v_add_f32_e32 v137, v135, v103
	;; [unrolled: 1-line block ×3, first 2 shown]
	v_mul_f32_e32 v151, 0xbf1a4643, v68
	v_mov_b32_e32 v99, v166
	v_mul_f32_e32 v166, 0x3f6eb680, v145
	v_add_f32_e32 v163, v188, v163
	v_add_f32_e32 v135, v49, v135
	v_mov_b32_e32 v146, v227
	v_mov_b32_e32 v227, v159
	v_mul_f32_e32 v159, 0xbe8c1d8e, v129
	v_mul_f32_e32 v213, 0xbf59a7d5, v160
	v_add_f32_e32 v135, v163, v135
	v_add_f32_e32 v166, v199, v166
	v_sub_f32_e32 v151, v151, v190
	v_mov_b32_e32 v74, v94
	v_mov_b32_e32 v94, v168
	v_mul_f32_e32 v168, 0x3f6eb680, v143
	v_mul_f32_e32 v251, 0x3dbcf732, v178
	v_add_f32_e32 v135, v166, v135
	v_add_f32_e32 v201, v201, v213
	v_sub_f32_e32 v159, v159, v191
	v_add_f32_e32 v151, v48, v151
	v_mul_f32_e32 v196, 0xbf59a7d5, v157
	v_add_f32_e32 v135, v201, v135
	v_add_f32_e32 v219, v219, v251
	;; [unrolled: 1-line block ×3, first 2 shown]
	v_sub_f32_e32 v168, v168, v194
	v_mul_f32_e32 v242, 0x3dbcf732, v175
	v_add_f32_e32 v135, v219, v135
	v_mul_f32_e32 v219, 0x3f3d2fb0, v197
	v_add_f32_e32 v151, v168, v151
	v_sub_f32_e32 v196, v196, v209
	v_add_f32_e32 v219, v236, v219
	v_mul_f32_e32 v236, 0x3f3d2fb0, v192
	v_add_f32_e32 v151, v196, v151
	v_sub_f32_e32 v212, v242, v212
	v_add_f32_e32 v135, v219, v135
	v_mul_f32_e32 v219, 0xbf7ba420, v215
	v_add_f32_e32 v151, v212, v151
	v_mul_f32_e32 v212, 0xbf7ba420, v210
	v_sub_f32_e32 v230, v236, v230
	v_add_f32_e32 v219, v248, v219
	v_add_f32_e32 v151, v230, v151
	v_sub_f32_e32 v212, v212, v245
	v_mul_f32_e32 v102, 0xbe8c1d8e, v69
	v_add_f32_e32 v135, v219, v135
	v_mul_f32_e32 v219, 0x3ee437d1, v233
	v_add_f32_e32 v151, v212, v151
	v_mul_f32_e32 v212, 0x3ee437d1, v228
	v_mul_f32_e32 v161, 0xbf59a7d5, v131
	v_add_f32_e32 v136, v136, v219
	v_sub_f32_e32 v133, v212, v133
	v_add_f32_e32 v102, v200, v102
	buffer_store_dword v120, off, s[20:23], 0 offset:112 ; 4-byte Folded Spill
	v_mul_f32_e32 v120, 0x3f3d2fb0, v145
	v_add_f32_e32 v136, v136, v135
	v_add_f32_e32 v135, v133, v151
	;; [unrolled: 1-line block ×4, first 2 shown]
	v_mul_f32_e32 v170, 0x3ee437d1, v160
	v_add_f32_e32 v102, v133, v102
	v_add_f32_e32 v120, v173, v120
	v_mul_f32_e32 v231, 0xbf7ba420, v178
	v_add_f32_e32 v102, v120, v102
	v_add_f32_e32 v120, v205, v170
	;; [unrolled: 1-line block ×5, first 2 shown]
	buffer_load_dword v120, off, s[20:23], 0 offset:4 ; 4-byte Folded Reload
	v_mul_f32_e32 v251, 0x3dbcf732, v197
	v_mul_f32_e32 v242, 0x3f6eb680, v215
	;; [unrolled: 1-line block ×4, first 2 shown]
	v_mov_b32_e32 v208, v158
	v_mul_f32_e32 v158, 0xbf59a7d5, v129
	v_mov_b32_e32 v73, v167
	v_mul_f32_e32 v167, 0x3f3d2fb0, v143
	v_mul_f32_e32 v115, 0x3ee437d1, v157
	;; [unrolled: 1-line block ×3, first 2 shown]
	v_sub_f32_e32 v115, v115, v204
	v_mul_f32_e32 v101, 0x3dbcf732, v69
	v_mul_f32_e32 v201, 0x3dbcf732, v192
	v_add_f32_e32 v101, v98, v101
	v_mul_f32_e32 v196, 0x3f6eb680, v210
	v_mul_f32_e32 v133, 0xbf1a4643, v228
	;; [unrolled: 1-line block ×3, first 2 shown]
	v_mov_b32_e32 v64, v106
	v_mov_b32_e32 v106, v183
	v_mul_f32_e32 v183, 0x3f7ee86f, v125
	buffer_store_dword v63, off, s[20:23], 0 offset:108 ; 4-byte Folded Spill
	v_mul_f32_e32 v63, 0xbe8c1d8e, v145
	v_fma_f32 v125, v228, s14, -v183
	v_add_f32_e32 v101, v49, v101
	v_add_f32_e32 v140, v125, v128
	v_mul_f32_e32 v128, 0x3f6eb680, v160
	v_add_f32_e32 v63, v142, v63
	v_mul_f32_e32 v207, 0x3ee437d1, v178
	buffer_load_dword v98, off, s[20:23], 0 offset:28 ; 4-byte Folded Reload
	v_mul_f32_e32 v213, 0xbf59a7d5, v197
	v_mul_f32_e32 v195, 0xbf1a4643, v215
	;; [unrolled: 1-line block ×4, first 2 shown]
	v_mov_b32_e32 v206, v156
	v_mul_f32_e32 v156, 0xbf7ba420, v129
	buffer_store_dword v62, off, s[20:23], 0 offset:104 ; 4-byte Folded Spill
	v_mul_f32_e32 v62, 0xbe8c1d8e, v143
	v_mul_f32_e32 v184, 0x3f6eb680, v157
	v_sub_f32_e32 v62, v62, v116
	v_mul_f32_e32 v189, 0x3ee437d1, v175
	v_mul_f32_e32 v166, 0xbf59a7d5, v192
	;; [unrolled: 1-line block ×5, first 2 shown]
	v_mov_b32_e32 v243, v155
	v_mul_f32_e32 v155, 0xbf1a4643, v131
	buffer_store_dword v66, off, s[20:23], 0 offset:100 ; 4-byte Folded Spill
	v_mul_f32_e32 v66, 0xbf7ba420, v145
	v_mul_f32_e32 v182, 0xbe8c1d8e, v160
	;; [unrolled: 1-line block ×14, first 2 shown]
	buffer_store_dword v220, off, s[20:23], 0 offset:164 ; 4-byte Folded Spill
	v_mov_b32_e32 v220, v239
	v_mul_f32_e32 v239, 0xbf7ba420, v160
	v_mul_f32_e32 v162, 0xbf59a7d5, v178
	;; [unrolled: 1-line block ×16, first 2 shown]
	s_waitcnt vmcnt(5)
	v_add_f32_e32 v120, v120, v251
	v_add_f32_e32 v102, v120, v102
	buffer_load_dword v120, off, s[20:23], 0 offset:44 ; 4-byte Folded Reload
	v_mul_f32_e32 v248, 0xbf59a7d5, v210
	v_mul_f32_e32 v236, 0xbf7ba420, v228
	v_fmac_f32_e32 v177, 0xbf7ba420, v68
	v_fmac_f32_e32 v174, 0x3f6eb680, v129
	;; [unrolled: 1-line block ×8, first 2 shown]
	s_waitcnt vmcnt(0)
	v_add_f32_e32 v120, v120, v242
	v_add_f32_e32 v102, v120, v102
	v_add_f32_e32 v120, v134, v202
	v_add_f32_e32 v134, v120, v102
	v_sub_f32_e32 v102, v150, v152
	v_add_f32_e32 v102, v48, v102
	v_sub_f32_e32 v120, v158, v164
	v_add_f32_e32 v102, v120, v102
	;; [unrolled: 2-line block ×3, first 2 shown]
	v_add_f32_e32 v102, v115, v102
	v_sub_f32_e32 v115, v224, v223
	v_add_f32_e32 v102, v115, v102
	buffer_load_dword v115, off, s[20:23], 0 ; 4-byte Folded Reload
	s_waitcnt vmcnt(0)
	v_sub_f32_e32 v115, v201, v115
	v_add_f32_e32 v102, v115, v102
	buffer_load_dword v115, off, s[20:23], 0 offset:36 ; 4-byte Folded Reload
	s_waitcnt vmcnt(0)
	v_sub_f32_e32 v115, v196, v115
	v_add_f32_e32 v102, v115, v102
	v_sub_f32_e32 v115, v133, v130
	v_add_f32_e32 v133, v115, v102
	v_add_f32_e32 v102, v232, v154
	;; [unrolled: 1-line block ×14, first 2 shown]
	v_sub_f32_e32 v63, v100, v149
	v_add_f32_e32 v63, v48, v63
	v_sub_f32_e32 v100, v156, v227
	v_add_f32_e32 v63, v100, v63
	v_add_f32_e32 v62, v62, v63
	v_sub_f32_e32 v63, v184, v181
	v_add_f32_e32 v62, v63, v62
	v_sub_f32_e32 v63, v189, v108
	;; [unrolled: 2-line block ×3, first 2 shown]
	v_add_f32_e32 v62, v63, v62
	buffer_load_dword v63, off, s[20:23], 0 offset:24 ; 4-byte Folded Reload
	s_waitcnt vmcnt(0)
	v_sub_f32_e32 v63, v168, v63
	v_add_f32_e32 v62, v63, v62
	v_sub_f32_e32 v63, v200, v127
	v_add_f32_e32 v127, v63, v62
	v_add_f32_e32 v62, v65, v144
	;; [unrolled: 1-line block ×13, first 2 shown]
	buffer_load_dword v63, off, s[20:23], 0 offset:20 ; 4-byte Folded Reload
	v_mov_b32_e32 v94, v74
	buffer_load_dword v65, off, s[20:23], 0 offset:176 ; 4-byte Folded Reload
	s_waitcnt vmcnt(1)
	v_add_f32_e32 v63, v63, v194
	v_add_f32_e32 v62, v63, v62
	;; [unrolled: 1-line block ×4, first 2 shown]
	v_mul_f32_e32 v62, 0x3ee437d1, v68
	v_sub_f32_e32 v62, v62, v147
	v_add_f32_e32 v62, v48, v62
	v_sub_f32_e32 v63, v226, v206
	v_add_f32_e32 v62, v63, v62
	;; [unrolled: 2-line block ×6, first 2 shown]
	buffer_load_dword v63, off, s[20:23], 0 offset:16 ; 4-byte Folded Reload
	buffer_load_dword v97, off, s[20:23], 0 offset:48 ; 4-byte Folded Reload
	s_waitcnt vmcnt(1)
	v_sub_f32_e32 v63, v159, v63
	v_add_f32_e32 v62, v63, v62
	v_sub_f32_e32 v63, v151, v255
	v_add_f32_e32 v125, v63, v62
	buffer_load_dword v62, off, s[20:23], 0 offset:172 ; 4-byte Folded Reload
	v_mul_f32_e32 v63, 0x3f3d2fb0, v69
	s_waitcnt vmcnt(0)
	v_add_f32_e32 v62, v62, v63
	v_mul_f32_e32 v63, 0x3dbcf732, v131
	v_add_f32_e32 v62, v49, v62
	v_add_f32_e32 v63, v243, v63
	;; [unrolled: 1-line block ×7, first 2 shown]
	buffer_load_dword v63, off, s[20:23], 0 offset:192 ; 4-byte Folded Reload
	s_waitcnt vmcnt(0)
	v_add_f32_e32 v63, v63, v162
	v_add_f32_e32 v62, v63, v62
	buffer_load_dword v63, off, s[20:23], 0 offset:180 ; 4-byte Folded Reload
	s_waitcnt vmcnt(0)
	v_add_f32_e32 v63, v63, v187
	v_add_f32_e32 v62, v63, v62
	;; [unrolled: 4-line block ×3, first 2 shown]
	v_add_f32_e32 v63, v250, v212
	v_add_f32_e32 v147, v63, v62
	buffer_load_dword v63, off, s[20:23], 0 offset:152 ; 4-byte Folded Reload
	v_mul_f32_e32 v62, 0x3f3d2fb0, v68
	s_waitcnt vmcnt(0)
	v_sub_f32_e32 v62, v62, v63
	v_mul_f32_e32 v63, 0x3dbcf732, v129
	v_sub_f32_e32 v63, v63, v65
	buffer_load_dword v65, off, s[20:23], 0 offset:188 ; 4-byte Folded Reload
	v_add_f32_e32 v62, v48, v62
	v_add_f32_e32 v62, v63, v62
	v_mul_f32_e32 v63, 0xbf1a4643, v143
	s_waitcnt vmcnt(0)
	v_sub_f32_e32 v63, v63, v65
	v_add_f32_e32 v62, v63, v62
	v_sub_f32_e32 v63, v221, v220
	v_add_f32_e32 v62, v63, v62
	buffer_load_dword v63, off, s[20:23], 0 offset:168 ; 4-byte Folded Reload
	v_mul_f32_e32 v65, 0x3f3d2fb0, v131
	s_waitcnt vmcnt(0)
	v_sub_f32_e32 v63, v185, v63
	v_add_f32_e32 v62, v63, v62
	buffer_load_dword v63, off, s[20:23], 0 offset:148 ; 4-byte Folded Reload
	s_waitcnt vmcnt(0)
	v_sub_f32_e32 v63, v148, v63
	v_add_f32_e32 v62, v63, v62
	buffer_load_dword v63, off, s[20:23], 0 offset:8 ; 4-byte Folded Reload
	s_waitcnt vmcnt(0)
	v_sub_f32_e32 v63, v190, v63
	v_add_f32_e32 v62, v63, v62
	v_sub_f32_e32 v63, v245, v240
	v_add_f32_e32 v146, v63, v62
	buffer_load_dword v62, off, s[20:23], 0 offset:124 ; 4-byte Folded Reload
	v_mul_f32_e32 v63, 0x3f6eb680, v69
	s_waitcnt vmcnt(0)
	v_add_f32_e32 v62, v62, v63
	buffer_load_dword v63, off, s[20:23], 0 offset:132 ; 4-byte Folded Reload
	v_add_f32_e32 v62, v49, v62
	s_waitcnt vmcnt(0)
	v_add_f32_e32 v63, v63, v65
	v_add_f32_e32 v62, v63, v62
	buffer_load_dword v63, off, s[20:23], 0 offset:160 ; 4-byte Folded Reload
	v_mul_f32_e32 v65, 0x3ee437d1, v145
	s_waitcnt vmcnt(0)
	v_add_f32_e32 v63, v63, v65
	v_add_f32_e32 v62, v63, v62
	buffer_load_dword v63, off, s[20:23], 0 offset:184 ; 4-byte Folded Reload
	v_mul_f32_e32 v65, 0x3dbcf732, v160
	;; [unrolled: 5-line block ×3, first 2 shown]
	s_waitcnt vmcnt(0)
	v_add_f32_e32 v63, v63, v253
	v_add_f32_e32 v62, v63, v62
	;; [unrolled: 1-line block ×4, first 2 shown]
	buffer_load_dword v63, off, s[20:23], 0 offset:144 ; 4-byte Folded Reload
	s_waitcnt vmcnt(0)
	v_add_f32_e32 v63, v63, v219
	v_add_f32_e32 v62, v63, v62
	buffer_load_dword v63, off, s[20:23], 0 offset:40 ; 4-byte Folded Reload
	s_waitcnt vmcnt(0)
	v_add_f32_e32 v63, v63, v230
	v_add_f32_e32 v150, v63, v62
	buffer_load_dword v63, off, s[20:23], 0 offset:116 ; 4-byte Folded Reload
	v_mul_f32_e32 v62, 0x3f6eb680, v68
	s_waitcnt vmcnt(0)
	v_sub_f32_e32 v62, v62, v63
	buffer_load_dword v63, off, s[20:23], 0 offset:120 ; 4-byte Folded Reload
	v_add_f32_e32 v62, v48, v62
	s_waitcnt vmcnt(0)
	v_sub_f32_e32 v63, v65, v63
	v_add_f32_e32 v62, v63, v62
	buffer_load_dword v63, off, s[20:23], 0 offset:128 ; 4-byte Folded Reload
	v_mul_f32_e32 v65, 0x3ee437d1, v143
	s_waitcnt vmcnt(0)
	v_sub_f32_e32 v63, v65, v63
	v_add_f32_e32 v62, v63, v62
	buffer_load_dword v63, off, s[20:23], 0 offset:156 ; 4-byte Folded Reload
	v_mul_f32_e32 v65, 0x3dbcf732, v157
	s_waitcnt vmcnt(0)
	v_sub_f32_e32 v63, v65, v63
	v_add_f32_e32 v62, v63, v62
	v_sub_f32_e32 v63, v246, v64
	v_add_f32_e32 v62, v63, v62
	buffer_load_dword v63, off, s[20:23], 0 offset:140 ; 4-byte Folded Reload
	s_waitcnt vmcnt(0)
	v_sub_f32_e32 v63, v103, v63
	v_add_f32_e32 v62, v63, v62
	buffer_load_dword v63, off, s[20:23], 0 offset:164 ; 4-byte Folded Reload
	s_waitcnt vmcnt(0)
	v_sub_f32_e32 v63, v248, v63
	v_add_f32_e32 v62, v63, v62
	buffer_load_dword v63, off, s[20:23], 0 offset:32 ; 4-byte Folded Reload
	s_waitcnt vmcnt(0)
	v_sub_f32_e32 v63, v236, v63
	v_add_f32_e32 v149, v63, v62
	v_add_f32_e32 v62, v49, v105
	;; [unrolled: 1-line block ×17, first 2 shown]
	buffer_load_dword v62, off, s[20:23], 0 offset:52 ; 4-byte Folded Reload
	buffer_load_dword v63, off, s[20:23], 0 offset:56 ; 4-byte Folded Reload
	s_waitcnt vmcnt(1)
	v_add_f32_e32 v62, v48, v62
	s_waitcnt vmcnt(0)
	v_add_f32_e32 v62, v62, v63
	buffer_load_dword v63, off, s[20:23], 0 offset:60 ; 4-byte Folded Reload
	v_add_f32_e32 v48, v48, v177
	v_add_f32_e32 v48, v174, v48
	;; [unrolled: 1-line block ×8, first 2 shown]
	s_waitcnt vmcnt(0)
	v_add_f32_e32 v62, v62, v63
	buffer_load_dword v63, off, s[20:23], 0 offset:64 ; 4-byte Folded Reload
	s_waitcnt vmcnt(0)
	v_add_f32_e32 v62, v62, v63
	buffer_load_dword v63, off, s[20:23], 0 offset:68 ; 4-byte Folded Reload
	;; [unrolled: 3-line block ×13, first 2 shown]
	s_waitcnt vmcnt(0)
	v_add_f32_e32 v66, v62, v63
	v_fma_f32 v62, v69, s18, -v180
	v_add_f32_e32 v49, v49, v62
	v_fma_f32 v62, v131, s6, -v179
	;; [unrolled: 2-line block ×8, first 2 shown]
	v_add_f32_e32 v49, v62, v49
	v_add_u32_e32 v62, 0x800, v93
	ds_write2_b64 v93, v[66:67], v[149:150] offset1:50
	ds_write2_b64 v93, v[146:147], v[125:126] offset0:100 offset1:150
	ds_write2_b64 v93, v[127:128], v[133:134] offset0:200 offset1:250
	;; [unrolled: 1-line block ×4, first 2 shown]
	v_add_u32_e32 v48, 0xc00, v93
	ds_write2_b64 v48, v[58:59], v[60:61] offset0:116 offset1:166
	v_add_u32_e32 v48, 0x1000, v93
	ds_write2_b64 v48, v[54:55], v[56:57] offset0:88 offset1:138
	ds_write2_b64 v48, v[50:51], v[52:53] offset0:188 offset1:238
	ds_write_b64 v93, v[91:92] offset:6400
.LBB0_5:
	s_or_b64 exec, exec, s[2:3]
	v_mov_b32_e32 v48, s13
	v_addc_co_u32_e32 v64, vcc, 0, v48, vcc
	v_add_co_u32_e32 v48, vcc, 0x1a90, v95
	s_mov_b64 s[2:3], vcc
	v_add_co_u32_e32 v62, vcc, 0x1000, v95
	v_addc_co_u32_e32 v63, vcc, 0, v64, vcc
	s_waitcnt vmcnt(0) lgkmcnt(0)
	s_barrier
	global_load_dwordx2 v[66:67], v[62:63], off offset:2704
	v_addc_co_u32_e64 v49, vcc, 0, v64, s[2:3]
	global_load_dwordx2 v[68:69], v[48:49], off offset:680
	global_load_dwordx2 v[107:108], v[48:49], off offset:1360
	global_load_dwordx2 v[109:110], v[48:49], off offset:2040
	global_load_dwordx2 v[111:112], v[48:49], off offset:2720
	global_load_dwordx2 v[113:114], v[48:49], off offset:3400
	s_movk_i32 s2, 0x2000
	v_add_co_u32_e32 v62, vcc, s2, v95
	v_addc_co_u32_e32 v63, vcc, 0, v64, vcc
	s_movk_i32 s2, 0x3000
	global_load_dwordx2 v[115:116], v[62:63], off offset:3368
	global_load_dwordx2 v[117:118], v[48:49], off offset:4080
	;; [unrolled: 1-line block ×3, first 2 shown]
	v_add_co_u32_e32 v48, vcc, s2, v95
	v_addc_co_u32_e32 v49, vcc, 0, v64, vcc
	global_load_dwordx2 v[121:122], v[48:49], off offset:632
	ds_read2_b64 v[62:65], v93 offset1:85
	v_add_u32_e32 v95, 0x800, v93
	v_add_u32_e32 v49, 0xc00, v93
	s_waitcnt vmcnt(8) lgkmcnt(0)
	v_mul_f32_e32 v101, v65, v69
	v_mul_f32_e32 v48, v63, v67
	;; [unrolled: 1-line block ×4, first 2 shown]
	v_fma_f32 v99, v62, v66, -v48
	v_fmac_f32_e32 v100, v63, v66
	v_fma_f32 v66, v64, v68, -v101
	v_fmac_f32_e32 v67, v65, v68
	ds_write2_b64 v93, v[99:100], v[66:67] offset1:85
	ds_read2_b64 v[62:65], v93 offset0:170 offset1:255
	v_add_u32_e32 v48, 0x1000, v93
	ds_read2_b64 v[66:69], v95 offset0:84 offset1:169
	ds_read2_b64 v[99:102], v49 offset0:126 offset1:211
	;; [unrolled: 1-line block ×3, first 2 shown]
	s_waitcnt vmcnt(7) lgkmcnt(3)
	v_mul_f32_e32 v124, v63, v108
	v_mul_f32_e32 v123, v62, v108
	s_waitcnt vmcnt(6)
	v_mul_f32_e32 v125, v65, v110
	v_mul_f32_e32 v108, v64, v110
	s_waitcnt vmcnt(5) lgkmcnt(2)
	v_mul_f32_e32 v126, v67, v112
	v_mul_f32_e32 v110, v66, v112
	s_waitcnt vmcnt(4)
	v_mul_f32_e32 v127, v69, v114
	v_mul_f32_e32 v112, v68, v114
	s_waitcnt vmcnt(2) lgkmcnt(1)
	v_mul_f32_e32 v128, v100, v118
	v_mul_f32_e32 v114, v99, v118
	;; [unrolled: 1-line block ×4, first 2 shown]
	s_waitcnt vmcnt(1) lgkmcnt(0)
	v_mul_f32_e32 v130, v104, v120
	v_mul_f32_e32 v116, v103, v120
	s_waitcnt vmcnt(0)
	v_mul_f32_e32 v131, v106, v122
	v_mul_f32_e32 v120, v105, v122
	v_fma_f32 v122, v62, v107, -v124
	v_fmac_f32_e32 v123, v63, v107
	v_fma_f32 v107, v64, v109, -v125
	v_fmac_f32_e32 v108, v65, v109
	;; [unrolled: 2-line block ×8, first 2 shown]
	ds_write2_b64 v93, v[122:123], v[107:108] offset0:170 offset1:255
	ds_write2_b64 v95, v[109:110], v[111:112] offset0:84 offset1:169
	;; [unrolled: 1-line block ×4, first 2 shown]
	s_waitcnt lgkmcnt(0)
	s_barrier
	ds_read2_b64 v[62:65], v93 offset1:85
	ds_read2_b64 v[66:69], v93 offset0:170 offset1:255
	ds_read2_b64 v[99:102], v95 offset0:84 offset1:169
	;; [unrolled: 1-line block ×4, first 2 shown]
	s_waitcnt lgkmcnt(0)
	v_add_f32_e32 v111, v62, v66
	v_sub_f32_e32 v116, v66, v99
	v_add_f32_e32 v112, v99, v103
	v_fma_f32 v112, -0.5, v112, v62
	v_sub_f32_e32 v113, v67, v108
	v_mov_b32_e32 v114, v112
	v_fmac_f32_e32 v114, 0xbf737871, v113
	v_sub_f32_e32 v115, v100, v104
	v_sub_f32_e32 v117, v107, v103
	v_fmac_f32_e32 v112, 0x3f737871, v113
	v_fmac_f32_e32 v114, 0xbf167918, v115
	v_add_f32_e32 v116, v116, v117
	v_fmac_f32_e32 v112, 0x3f167918, v115
	v_fmac_f32_e32 v114, 0x3e9e377a, v116
	;; [unrolled: 1-line block ×3, first 2 shown]
	v_add_f32_e32 v116, v66, v107
	v_fma_f32 v116, -0.5, v116, v62
	v_mov_b32_e32 v117, v116
	v_fmac_f32_e32 v117, 0x3f737871, v115
	v_sub_f32_e32 v62, v99, v66
	v_sub_f32_e32 v118, v103, v107
	v_fmac_f32_e32 v116, 0xbf737871, v115
	v_fmac_f32_e32 v117, 0xbf167918, v113
	v_add_f32_e32 v62, v62, v118
	v_fmac_f32_e32 v116, 0x3f167918, v113
	v_fmac_f32_e32 v117, 0x3e9e377a, v62
	;; [unrolled: 1-line block ×3, first 2 shown]
	v_add_f32_e32 v62, v63, v67
	v_add_f32_e32 v62, v62, v100
	;; [unrolled: 1-line block ×5, first 2 shown]
	v_fma_f32 v115, -0.5, v62, v63
	v_add_f32_e32 v111, v111, v99
	v_sub_f32_e32 v62, v66, v107
	v_mov_b32_e32 v118, v115
	v_add_f32_e32 v111, v111, v103
	v_fmac_f32_e32 v118, 0x3f737871, v62
	v_sub_f32_e32 v66, v99, v103
	v_sub_f32_e32 v99, v67, v100
	;; [unrolled: 1-line block ×3, first 2 shown]
	v_fmac_f32_e32 v115, 0xbf737871, v62
	v_fmac_f32_e32 v118, 0x3f167918, v66
	v_add_f32_e32 v99, v99, v103
	v_fmac_f32_e32 v115, 0xbf167918, v66
	v_fmac_f32_e32 v118, 0x3e9e377a, v99
	;; [unrolled: 1-line block ×3, first 2 shown]
	v_add_f32_e32 v99, v67, v108
	v_fma_f32 v119, -0.5, v99, v63
	v_mov_b32_e32 v120, v119
	v_fmac_f32_e32 v120, 0xbf737871, v66
	v_fmac_f32_e32 v119, 0x3f737871, v66
	;; [unrolled: 1-line block ×4, first 2 shown]
	v_add_f32_e32 v62, v64, v68
	v_add_f32_e32 v62, v62, v101
	;; [unrolled: 1-line block ×3, first 2 shown]
	v_sub_f32_e32 v63, v100, v67
	v_sub_f32_e32 v67, v104, v108
	v_add_f32_e32 v103, v62, v109
	v_add_f32_e32 v62, v101, v105
	;; [unrolled: 1-line block ×3, first 2 shown]
	v_fma_f32 v100, -0.5, v62, v64
	v_fmac_f32_e32 v120, 0x3e9e377a, v63
	v_fmac_f32_e32 v119, 0x3e9e377a, v63
	v_sub_f32_e32 v62, v69, v110
	v_mov_b32_e32 v63, v100
	v_fmac_f32_e32 v63, 0xbf737871, v62
	v_sub_f32_e32 v66, v102, v106
	v_sub_f32_e32 v67, v68, v101
	;; [unrolled: 1-line block ×3, first 2 shown]
	v_fmac_f32_e32 v100, 0x3f737871, v62
	v_fmac_f32_e32 v63, 0xbf167918, v66
	v_add_f32_e32 v67, v67, v99
	v_fmac_f32_e32 v100, 0x3f167918, v66
	v_fmac_f32_e32 v63, 0x3e9e377a, v67
	;; [unrolled: 1-line block ×3, first 2 shown]
	v_add_f32_e32 v67, v68, v109
	v_fma_f32 v104, -0.5, v67, v64
	v_add_f32_e32 v111, v111, v107
	v_mov_b32_e32 v107, v104
	v_fmac_f32_e32 v107, 0x3f737871, v66
	v_fmac_f32_e32 v104, 0xbf737871, v66
	;; [unrolled: 1-line block ×4, first 2 shown]
	v_add_f32_e32 v62, v65, v69
	v_add_f32_e32 v62, v62, v102
	;; [unrolled: 1-line block ×5, first 2 shown]
	v_sub_f32_e32 v64, v101, v68
	v_sub_f32_e32 v67, v105, v109
	v_fma_f32 v121, -0.5, v62, v65
	v_add_f32_e32 v64, v64, v67
	v_sub_f32_e32 v62, v68, v109
	v_mov_b32_e32 v109, v121
	v_fmac_f32_e32 v107, 0x3e9e377a, v64
	v_fmac_f32_e32 v104, 0x3e9e377a, v64
	;; [unrolled: 1-line block ×3, first 2 shown]
	v_sub_f32_e32 v64, v101, v105
	v_sub_f32_e32 v66, v69, v102
	;; [unrolled: 1-line block ×3, first 2 shown]
	v_fmac_f32_e32 v121, 0xbf737871, v62
	v_fmac_f32_e32 v109, 0x3f167918, v64
	v_add_f32_e32 v66, v66, v67
	v_fmac_f32_e32 v121, 0xbf167918, v64
	v_fmac_f32_e32 v109, 0x3e9e377a, v66
	;; [unrolled: 1-line block ×3, first 2 shown]
	v_add_f32_e32 v66, v69, v110
	v_fmac_f32_e32 v65, -0.5, v66
	v_mov_b32_e32 v101, v65
	v_fmac_f32_e32 v101, 0xbf737871, v64
	v_sub_f32_e32 v66, v102, v69
	v_sub_f32_e32 v67, v106, v110
	v_fmac_f32_e32 v65, 0x3f737871, v64
	v_fmac_f32_e32 v101, 0x3f167918, v62
	v_add_f32_e32 v66, v66, v67
	v_fmac_f32_e32 v65, 0xbf167918, v62
	v_fmac_f32_e32 v101, 0x3e9e377a, v66
	;; [unrolled: 1-line block ×3, first 2 shown]
	v_mul_f32_e32 v102, 0xbf167918, v109
	v_mul_f32_e32 v105, 0xbf737871, v101
	;; [unrolled: 1-line block ×8, first 2 shown]
	v_fmac_f32_e32 v102, 0x3f4f1bbd, v63
	v_fmac_f32_e32 v105, 0x3e9e377a, v107
	;; [unrolled: 1-line block ×8, first 2 shown]
	v_add_f32_e32 v66, v111, v103
	v_add_f32_e32 v68, v114, v102
	;; [unrolled: 1-line block ×10, first 2 shown]
	v_sub_f32_e32 v101, v111, v103
	v_sub_f32_e32 v103, v114, v102
	;; [unrolled: 1-line block ×10, first 2 shown]
	s_barrier
	ds_write_b128 v96, v[66:69]
	ds_write_b128 v96, v[62:65] offset:16
	ds_write_b128 v96, v[99:102] offset:32
	;; [unrolled: 1-line block ×4, first 2 shown]
	s_waitcnt lgkmcnt(0)
	s_barrier
	ds_read2_b64 v[66:69], v93 offset0:170 offset1:255
	ds_read2_b64 v[62:65], v93 offset1:85
	ds_read2_b64 v[99:102], v95 offset0:84 offset1:169
	ds_read2_b64 v[103:106], v49 offset0:126 offset1:211
	;; [unrolled: 1-line block ×3, first 2 shown]
	s_waitcnt lgkmcnt(4)
	v_mul_f32_e32 v96, v9, v67
	v_mul_f32_e32 v9, v9, v66
	v_fmac_f32_e32 v96, v8, v66
	v_fma_f32 v66, v8, v67, -v9
	s_waitcnt lgkmcnt(2)
	v_mul_f32_e32 v67, v11, v100
	v_mul_f32_e32 v8, v11, v99
	s_waitcnt lgkmcnt(1)
	v_mul_f32_e32 v11, v17, v104
	v_fmac_f32_e32 v67, v10, v99
	v_fma_f32 v10, v10, v100, -v8
	v_fmac_f32_e32 v11, v16, v103
	v_mul_f32_e32 v8, v17, v103
	v_mul_f32_e32 v103, v1, v69
	;; [unrolled: 1-line block ×3, first 2 shown]
	v_fma_f32 v99, v16, v104, -v8
	s_waitcnt lgkmcnt(0)
	v_mul_f32_e32 v8, v19, v107
	v_fmac_f32_e32 v103, v0, v68
	v_fma_f32 v104, v0, v69, -v1
	v_mul_f32_e32 v69, v3, v102
	v_mul_f32_e32 v0, v3, v101
	v_add_f32_e32 v1, v67, v11
	v_mul_f32_e32 v17, v19, v108
	v_fma_f32 v100, v18, v108, -v8
	v_fmac_f32_e32 v69, v2, v101
	v_fma_f32 v101, v2, v102, -v0
	v_mul_f32_e32 v102, v13, v106
	v_mul_f32_e32 v0, v13, v105
	v_fma_f32 v8, -0.5, v1, v62
	v_fmac_f32_e32 v17, v18, v107
	v_fmac_f32_e32 v102, v12, v105
	v_fma_f32 v12, v12, v106, -v0
	v_mul_f32_e32 v13, v15, v110
	v_mul_f32_e32 v0, v15, v109
	v_sub_f32_e32 v1, v66, v100
	v_mov_b32_e32 v2, v8
	v_fmac_f32_e32 v13, v14, v109
	v_fma_f32 v105, v14, v110, -v0
	v_fmac_f32_e32 v2, 0xbf737871, v1
	v_sub_f32_e32 v3, v10, v99
	v_sub_f32_e32 v9, v96, v67
	;; [unrolled: 1-line block ×3, first 2 shown]
	v_fmac_f32_e32 v8, 0x3f737871, v1
	v_fmac_f32_e32 v2, 0xbf167918, v3
	v_add_f32_e32 v9, v9, v14
	v_fmac_f32_e32 v8, 0x3f167918, v3
	v_fmac_f32_e32 v2, 0x3e9e377a, v9
	;; [unrolled: 1-line block ×3, first 2 shown]
	v_add_f32_e32 v9, v96, v17
	v_fma_f32 v18, -0.5, v9, v62
	v_mov_b32_e32 v16, v18
	v_fmac_f32_e32 v16, 0x3f737871, v3
	v_sub_f32_e32 v9, v67, v96
	v_sub_f32_e32 v14, v11, v17
	v_fmac_f32_e32 v18, 0xbf737871, v3
	v_add_f32_e32 v0, v62, v96
	v_fmac_f32_e32 v16, 0xbf167918, v1
	v_add_f32_e32 v9, v9, v14
	;; [unrolled: 2-line block ×3, first 2 shown]
	v_add_f32_e32 v0, v0, v67
	v_fmac_f32_e32 v16, 0x3e9e377a, v9
	v_fmac_f32_e32 v18, 0x3e9e377a, v9
	v_fma_f32 v9, -0.5, v3, v63
	v_add_f32_e32 v0, v0, v11
	v_sub_f32_e32 v14, v96, v17
	v_mov_b32_e32 v3, v9
	v_add_f32_e32 v0, v0, v17
	v_fmac_f32_e32 v3, 0x3f737871, v14
	v_sub_f32_e32 v11, v67, v11
	v_sub_f32_e32 v15, v66, v10
	;; [unrolled: 1-line block ×3, first 2 shown]
	v_fmac_f32_e32 v9, 0xbf737871, v14
	v_fmac_f32_e32 v3, 0x3f167918, v11
	v_add_f32_e32 v15, v15, v17
	v_fmac_f32_e32 v9, 0xbf167918, v11
	v_fmac_f32_e32 v3, 0x3e9e377a, v15
	;; [unrolled: 1-line block ×3, first 2 shown]
	v_add_f32_e32 v15, v66, v100
	v_fma_f32 v19, -0.5, v15, v63
	v_mov_b32_e32 v17, v19
	v_fmac_f32_e32 v17, 0xbf737871, v11
	v_fmac_f32_e32 v19, 0x3f737871, v11
	v_add_f32_e32 v11, v69, v102
	v_add_f32_e32 v1, v63, v66
	v_fmac_f32_e32 v17, 0x3f167918, v14
	v_fmac_f32_e32 v19, 0xbf167918, v14
	v_fma_f32 v14, -0.5, v11, v64
	v_add_f32_e32 v1, v1, v10
	v_sub_f32_e32 v10, v10, v66
	v_sub_f32_e32 v15, v99, v100
	;; [unrolled: 1-line block ×3, first 2 shown]
	v_mov_b32_e32 v66, v14
	v_add_f32_e32 v10, v10, v15
	v_fmac_f32_e32 v66, 0xbf737871, v11
	v_sub_f32_e32 v15, v101, v12
	v_sub_f32_e32 v62, v103, v69
	;; [unrolled: 1-line block ×3, first 2 shown]
	v_fmac_f32_e32 v14, 0x3f737871, v11
	v_fmac_f32_e32 v66, 0xbf167918, v15
	v_add_f32_e32 v62, v62, v63
	v_fmac_f32_e32 v14, 0x3f167918, v15
	v_fmac_f32_e32 v66, 0x3e9e377a, v62
	v_fmac_f32_e32 v14, 0x3e9e377a, v62
	v_add_f32_e32 v62, v103, v13
	v_fmac_f32_e32 v17, 0x3e9e377a, v10
	v_fmac_f32_e32 v19, 0x3e9e377a, v10
	v_add_f32_e32 v10, v64, v103
	v_fma_f32 v64, -0.5, v62, v64
	v_mov_b32_e32 v68, v64
	v_add_f32_e32 v10, v10, v69
	v_fmac_f32_e32 v68, 0x3f737871, v15
	v_fmac_f32_e32 v64, 0xbf737871, v15
	v_add_f32_e32 v15, v101, v12
	v_add_f32_e32 v10, v10, v102
	v_sub_f32_e32 v62, v69, v103
	v_sub_f32_e32 v63, v102, v13
	v_fma_f32 v15, -0.5, v15, v65
	v_add_f32_e32 v10, v10, v13
	v_fmac_f32_e32 v68, 0xbf167918, v11
	v_add_f32_e32 v62, v62, v63
	v_fmac_f32_e32 v64, 0x3f167918, v11
	v_sub_f32_e32 v13, v103, v13
	v_mov_b32_e32 v67, v15
	v_fmac_f32_e32 v68, 0x3e9e377a, v62
	v_fmac_f32_e32 v64, 0x3e9e377a, v62
	;; [unrolled: 1-line block ×3, first 2 shown]
	v_sub_f32_e32 v62, v69, v102
	v_sub_f32_e32 v63, v104, v101
	;; [unrolled: 1-line block ×3, first 2 shown]
	v_fmac_f32_e32 v15, 0xbf737871, v13
	v_fmac_f32_e32 v67, 0x3f167918, v62
	v_add_f32_e32 v63, v63, v69
	v_fmac_f32_e32 v15, 0xbf167918, v62
	v_fmac_f32_e32 v67, 0x3e9e377a, v63
	v_fmac_f32_e32 v15, 0x3e9e377a, v63
	v_add_f32_e32 v63, v104, v105
	v_add_f32_e32 v11, v65, v104
	v_fmac_f32_e32 v65, -0.5, v63
	v_add_f32_e32 v11, v11, v101
	v_mov_b32_e32 v69, v65
	v_add_f32_e32 v11, v11, v12
	v_fmac_f32_e32 v69, 0xbf737871, v62
	v_sub_f32_e32 v63, v101, v104
	v_sub_f32_e32 v12, v12, v105
	v_fmac_f32_e32 v65, 0x3f737871, v62
	v_add_f32_e32 v1, v1, v99
	v_fmac_f32_e32 v69, 0x3f167918, v13
	v_add_f32_e32 v12, v63, v12
	;; [unrolled: 2-line block ×3, first 2 shown]
	v_add_f32_e32 v11, v11, v105
	v_fmac_f32_e32 v69, 0x3e9e377a, v12
	v_fmac_f32_e32 v65, 0x3e9e377a, v12
	s_barrier
	ds_write2_b64 v97, v[0:1], v[2:3] offset1:10
	ds_write2_b64 v97, v[16:17], v[18:19] offset0:20 offset1:30
	ds_write_b64 v97, v[8:9] offset:320
	ds_write2_b64 v153, v[10:11], v[66:67] offset1:10
	ds_write2_b64 v153, v[68:69], v[64:65] offset0:20 offset1:30
	ds_write_b64 v153, v[14:15] offset:320
	s_waitcnt lgkmcnt(0)
	s_barrier
	s_and_saveexec_b64 s[2:3], s[0:1]
	s_cbranch_execz .LBB0_7
; %bb.6:
	ds_read2_b64 v[0:3], v93 offset1:50
	ds_read2_b64 v[16:19], v93 offset0:100 offset1:150
	ds_read2_b64 v[8:11], v93 offset0:200 offset1:250
	;; [unrolled: 1-line block ×7, first 2 shown]
	ds_read_b64 v[91:92], v93 offset:6400
	s_waitcnt lgkmcnt(4)
	v_mov_b32_e32 v64, v12
	v_mov_b32_e32 v65, v13
.LBB0_7:
	s_or_b64 exec, exec, s[2:3]
	s_and_saveexec_b64 s[2:3], s[0:1]
	s_cbranch_execz .LBB0_9
; %bb.8:
	s_waitcnt lgkmcnt(0)
	v_mul_f32_e32 v12, v43, v91
	v_fma_f32 v49, v42, v92, -v12
	v_mul_f32_e32 v12, v37, v2
	v_fma_f32 v63, v36, v3, -v12
	v_mul_f32_e32 v62, v37, v3
	v_mul_f32_e32 v3, v41, v52
	;; [unrolled: 1-line block ×3, first 2 shown]
	v_fma_f32 v43, v40, v53, -v3
	v_mul_f32_e32 v3, v39, v16
	v_add_f32_e32 v96, v49, v63
	v_fmac_f32_e32 v37, v42, v91
	v_fma_f32 v92, v38, v17, -v3
	v_mul_f32_e32 v91, v39, v17
	v_mul_f32_e32 v48, 0xbf7ba420, v96
	v_fmac_f32_e32 v62, v36, v2
	v_add_f32_e32 v98, v43, v92
	v_fmac_f32_e32 v91, v38, v16
	v_mul_f32_e32 v38, v41, v53
	v_sub_f32_e32 v36, v62, v37
	v_mov_b32_e32 v2, v48
	v_mul_f32_e32 v42, 0x3f6eb680, v98
	v_fmac_f32_e32 v38, v40, v52
	v_fmac_f32_e32 v2, 0x3e3c28d5, v36
	v_sub_f32_e32 v16, v91, v38
	v_mov_b32_e32 v3, v42
	v_add_f32_e32 v2, v1, v2
	v_fmac_f32_e32 v3, 0xbeb8f4ab, v16
	v_add_f32_e32 v2, v3, v2
	v_mul_f32_e32 v3, v35, v50
	v_fma_f32 v40, v34, v51, -v3
	v_mul_f32_e32 v3, v25, v18
	v_fma_f32 v52, v24, v19, -v3
	v_add_f32_e32 v100, v40, v52
	v_mul_f32_e32 v41, v25, v19
	v_mul_f32_e32 v35, v35, v51
	v_mul_f32_e32 v39, 0xbf59a7d5, v100
	v_fmac_f32_e32 v41, v24, v18
	v_fmac_f32_e32 v35, v34, v50
	v_sub_f32_e32 v17, v41, v35
	v_mov_b32_e32 v3, v39
	v_fmac_f32_e32 v3, 0x3f06c442, v17
	v_add_f32_e32 v2, v3, v2
	v_mul_f32_e32 v3, v33, v56
	v_fma_f32 v51, v32, v57, -v3
	v_mul_f32_e32 v3, v27, v8
	v_fma_f32 v53, v26, v9, -v3
	v_add_f32_e32 v101, v51, v53
	v_mul_f32_e32 v50, v27, v9
	v_mul_f32_e32 v33, v33, v57
	v_mul_f32_e32 v34, 0x3f3d2fb0, v101
	v_fmac_f32_e32 v50, v26, v8
	v_fmac_f32_e32 v33, v32, v56
	v_sub_f32_e32 v18, v50, v33
	v_mov_b32_e32 v3, v34
	;; [unrolled: 14-line block ×6, first 2 shown]
	v_sub_f32_e32 v119, v63, v49
	v_fmac_f32_e32 v3, 0xbf7ee86f, v14
	v_mul_f32_e32 v44, 0xbe3c28d5, v119
	v_sub_f32_e32 v120, v92, v43
	v_add_f32_e32 v3, v3, v2
	v_add_f32_e32 v15, v37, v62
	v_mov_b32_e32 v2, v44
	v_mul_f32_e32 v45, 0x3eb8f4ab, v120
	v_fmac_f32_e32 v2, 0xbf7ba420, v15
	v_add_f32_e32 v22, v38, v91
	v_mov_b32_e32 v4, v45
	v_sub_f32_e32 v121, v52, v40
	v_add_f32_e32 v2, v0, v2
	v_fmac_f32_e32 v4, 0x3f6eb680, v22
	v_mul_f32_e32 v58, 0xbf06c442, v121
	v_add_f32_e32 v2, v4, v2
	v_add_f32_e32 v23, v35, v41
	v_mov_b32_e32 v4, v58
	v_sub_f32_e32 v122, v53, v51
	v_fmac_f32_e32 v4, 0xbf59a7d5, v23
	v_mul_f32_e32 v59, 0x3f2c7751, v122
	v_add_f32_e32 v2, v4, v2
	v_add_f32_e32 v24, v33, v50
	v_mov_b32_e32 v4, v59
	v_sub_f32_e32 v123, v95, v57
	;; [unrolled: 6-line block ×5, first 2 shown]
	v_fmac_f32_e32 v4, 0xbe8c1d8e, v27
	v_mul_f32_e32 v102, 0x3f7ee86f, v126
	v_add_f32_e32 v2, v4, v2
	v_add_f32_e32 v28, v68, v67
	v_mov_b32_e32 v4, v102
	v_fmac_f32_e32 v4, 0x3dbcf732, v28
	v_mul_f32_e32 v103, 0xbf59a7d5, v96
	v_add_f32_e32 v2, v4, v2
	v_mov_b32_e32 v4, v103
	v_mul_f32_e32 v104, 0x3ee437d1, v98
	v_fmac_f32_e32 v4, 0x3f06c442, v36
	v_mov_b32_e32 v5, v104
	v_add_f32_e32 v4, v1, v4
	v_fmac_f32_e32 v5, 0xbf65296c, v16
	v_mul_f32_e32 v106, 0x3dbcf732, v100
	v_add_f32_e32 v4, v5, v4
	v_mov_b32_e32 v5, v106
	v_fmac_f32_e32 v5, 0x3f7ee86f, v17
	v_mul_f32_e32 v107, 0xbf1a4643, v101
	v_add_f32_e32 v4, v5, v4
	v_mov_b32_e32 v5, v107
	v_fmac_f32_e32 v5, 0xbf4c4adb, v18
	v_mul_f32_e32 v108, 0x3f6eb680, v115
	v_add_f32_e32 v4, v5, v4
	v_mov_b32_e32 v5, v108
	v_fmac_f32_e32 v5, 0x3eb8f4ab, v19
	v_mul_f32_e32 v110, 0xbf7ba420, v116
	v_add_f32_e32 v4, v5, v4
	v_mov_b32_e32 v5, v110
	v_fmac_f32_e32 v5, 0x3e3c28d5, v20
	v_mul_f32_e32 v111, 0x3f3d2fb0, v117
	v_add_f32_e32 v4, v5, v4
	v_mov_b32_e32 v5, v111
	v_fmac_f32_e32 v5, 0xbf2c7751, v21
	v_mul_f32_e32 v112, 0xbe8c1d8e, v118
	v_add_f32_e32 v4, v5, v4
	v_mov_b32_e32 v5, v112
	v_fmac_f32_e32 v5, 0x3f763a35, v14
	v_mul_f32_e32 v127, 0xbf06c442, v119
	v_add_f32_e32 v5, v5, v4
	v_mov_b32_e32 v4, v127
	v_mul_f32_e32 v128, 0x3f65296c, v120
	v_fmac_f32_e32 v4, 0xbf59a7d5, v15
	v_mov_b32_e32 v6, v128
	v_add_f32_e32 v4, v0, v4
	v_fmac_f32_e32 v6, 0x3ee437d1, v22
	v_mul_f32_e32 v129, 0xbf7ee86f, v121
	v_add_f32_e32 v4, v6, v4
	v_mov_b32_e32 v6, v129
	v_fmac_f32_e32 v6, 0x3dbcf732, v23
	v_mul_f32_e32 v130, 0x3f4c4adb, v122
	v_add_f32_e32 v4, v6, v4
	v_mov_b32_e32 v6, v130
	v_fmac_f32_e32 v6, 0xbf1a4643, v24
	v_mul_f32_e32 v131, 0xbeb8f4ab, v123
	v_add_f32_e32 v4, v6, v4
	v_mov_b32_e32 v6, v131
	v_fmac_f32_e32 v6, 0x3f6eb680, v25
	v_mul_f32_e32 v132, 0xbe3c28d5, v124
	v_add_f32_e32 v4, v6, v4
	v_mov_b32_e32 v6, v132
	v_fmac_f32_e32 v6, 0xbf7ba420, v26
	v_mul_f32_e32 v133, 0x3f2c7751, v125
	v_add_f32_e32 v4, v6, v4
	v_mov_b32_e32 v6, v133
	v_fmac_f32_e32 v6, 0x3f3d2fb0, v27
	v_mul_f32_e32 v134, 0xbf763a35, v126
	;; [unrolled: 32-line block ×6, first 2 shown]
	v_add_f32_e32 v63, v63, v1
	v_add_f32_e32 v8, v10, v8
	v_mov_b32_e32 v10, v166
	v_add_f32_e32 v63, v92, v63
	v_fmac_f32_e32 v10, 0xbf1a4643, v28
	v_mul_f32_e32 v167, 0x3dbcf732, v96
	v_add_f32_e32 v52, v52, v63
	v_add_f32_e32 v8, v10, v8
	v_mov_b32_e32 v10, v167
	v_mul_f32_e32 v168, 0xbf7ba420, v98
	v_add_f32_e32 v52, v53, v52
	v_fmac_f32_e32 v10, 0x3f7ee86f, v36
	v_mov_b32_e32 v11, v168
	v_add_f32_e32 v52, v95, v52
	v_add_f32_e32 v10, v1, v10
	v_fmac_f32_e32 v11, 0x3e3c28d5, v16
	v_mul_f32_e32 v169, 0xbe8c1d8e, v100
	v_add_f32_e32 v52, v99, v52
	v_add_f32_e32 v10, v11, v10
	v_mov_b32_e32 v11, v169
	v_add_f32_e32 v52, v66, v52
	v_fmac_f32_e32 v11, 0xbf763a35, v17
	v_mul_f32_e32 v170, 0x3f6eb680, v101
	v_add_f32_e32 v52, v109, v52
	v_add_f32_e32 v10, v11, v10
	v_mov_b32_e32 v11, v170
	;; [unrolled: 6-line block ×5, first 2 shown]
	v_add_f32_e32 v40, v43, v40
	v_fmac_f32_e32 v11, 0xbf4c4adb, v21
	v_mul_f32_e32 v174, 0x3f3d2fb0, v118
	v_add_f32_e32 v51, v49, v40
	v_add_f32_e32 v40, v0, v62
	;; [unrolled: 1-line block ×3, first 2 shown]
	v_mov_b32_e32 v11, v174
	v_add_f32_e32 v40, v91, v40
	v_fmac_f32_e32 v11, 0xbf2c7751, v14
	v_mul_f32_e32 v175, 0xbf7ee86f, v119
	v_add_f32_e32 v40, v41, v40
	v_add_f32_e32 v11, v11, v10
	v_mov_b32_e32 v10, v175
	v_mul_f32_e32 v176, 0xbe3c28d5, v120
	v_add_f32_e32 v40, v50, v40
	v_fmac_f32_e32 v10, 0x3dbcf732, v15
	v_mov_b32_e32 v12, v176
	v_add_f32_e32 v40, v56, v40
	v_add_f32_e32 v10, v0, v10
	v_fmac_f32_e32 v12, 0xbf7ba420, v22
	v_mul_f32_e32 v177, 0x3f763a35, v121
	v_add_f32_e32 v40, v55, v40
	v_add_f32_e32 v10, v12, v10
	v_mov_b32_e32 v12, v177
	v_add_f32_e32 v40, v60, v40
	v_fmac_f32_e32 v12, 0xbe8c1d8e, v23
	v_mul_f32_e32 v178, 0x3eb8f4ab, v122
	v_add_f32_e32 v40, v67, v40
	v_add_f32_e32 v10, v12, v10
	v_mov_b32_e32 v12, v178
	v_add_f32_e32 v40, v68, v40
	v_fmac_f32_e32 v12, 0x3f6eb680, v24
	v_mul_f32_e32 v179, 0xbf65296c, v123
	v_add_f32_e32 v40, v47, v40
	v_add_f32_e32 v10, v12, v10
	v_mov_b32_e32 v12, v179
	v_add_f32_e32 v40, v54, v40
	v_fmac_f32_e32 v12, 0x3ee437d1, v25
	v_mul_f32_e32 v180, 0xbf06c442, v124
	v_add_f32_e32 v31, v31, v40
	v_add_f32_e32 v10, v12, v10
	v_mov_b32_e32 v12, v180
	v_add_f32_e32 v31, v33, v31
	v_fmac_f32_e32 v12, 0xbf59a7d5, v26
	v_mul_f32_e32 v181, 0x3f4c4adb, v125
	v_add_f32_e32 v31, v35, v31
	v_add_f32_e32 v10, v12, v10
	v_mov_b32_e32 v12, v181
	v_add_f32_e32 v31, v38, v31
	v_fmac_f32_e32 v48, 0xbe3c28d5, v36
	v_fmac_f32_e32 v12, 0xbf1a4643, v27
	v_mul_f32_e32 v182, 0x3f2c7751, v126
	v_add_f32_e32 v50, v37, v31
	v_add_f32_e32 v31, v1, v48
	v_fmac_f32_e32 v42, 0x3eb8f4ab, v16
	v_add_f32_e32 v10, v12, v10
	v_mov_b32_e32 v12, v182
	v_add_f32_e32 v31, v42, v31
	v_fmac_f32_e32 v39, 0xbf06c442, v17
	v_fmac_f32_e32 v12, 0x3f3d2fb0, v28
	v_mul_f32_e32 v183, 0x3ee437d1, v96
	v_add_f32_e32 v31, v39, v31
	v_fmac_f32_e32 v34, 0x3f2c7751, v18
	v_add_f32_e32 v10, v12, v10
	v_mov_b32_e32 v12, v183
	v_mul_f32_e32 v184, 0xbf1a4643, v98
	v_add_f32_e32 v31, v34, v31
	v_fmac_f32_e32 v32, 0xbf4c4adb, v19
	v_fmac_f32_e32 v12, 0x3f65296c, v36
	v_mov_b32_e32 v13, v184
	v_add_f32_e32 v31, v32, v31
	v_fmac_f32_e32 v30, 0x3f65296c, v20
	v_add_f32_e32 v12, v1, v12
	v_fmac_f32_e32 v13, 0x3f4c4adb, v16
	v_mul_f32_e32 v185, 0xbf7ba420, v100
	v_add_f32_e32 v30, v30, v31
	v_fmac_f32_e32 v29, 0xbf763a35, v21
	s_mov_b32 s0, 0xbf7ba420
	v_add_f32_e32 v12, v13, v12
	v_mov_b32_e32 v13, v185
	v_add_f32_e32 v29, v29, v30
	v_fmac_f32_e32 v46, 0x3f7ee86f, v14
	s_mov_b32 s1, 0x3f6eb680
	v_fmac_f32_e32 v13, 0xbe3c28d5, v17
	v_mul_f32_e32 v186, 0xbe8c1d8e, v101
	v_add_f32_e32 v30, v46, v29
	v_fma_f32 v29, v15, s0, -v44
	s_mov_b32 s6, 0xbf59a7d5
	v_add_f32_e32 v12, v13, v12
	v_mov_b32_e32 v13, v186
	v_add_f32_e32 v29, v0, v29
	v_fma_f32 v31, v22, s1, -v45
	v_fmac_f32_e32 v13, 0xbf763a35, v18
	v_mul_f32_e32 v187, 0x3f3d2fb0, v115
	v_add_f32_e32 v29, v31, v29
	v_fma_f32 v31, v23, s6, -v58
	s_mov_b32 s12, 0xbf1a4643
	v_add_f32_e32 v12, v13, v12
	v_mov_b32_e32 v13, v187
	v_add_f32_e32 v29, v31, v29
	v_fma_f32 v31, v24, s7, -v59
	s_mov_b32 s13, 0x3ee437d1
	v_fmac_f32_e32 v13, 0xbf2c7751, v19
	v_mul_f32_e32 v188, 0x3f6eb680, v116
	v_add_f32_e32 v29, v31, v29
	v_fma_f32 v31, v25, s12, -v64
	s_mov_b32 s14, 0xbe8c1d8e
	v_add_f32_e32 v12, v13, v12
	v_mov_b32_e32 v13, v188
	v_add_f32_e32 v29, v31, v29
	v_fma_f32 v31, v26, s13, -v65
	s_mov_b32 s15, 0x3dbcf732
	v_fmac_f32_e32 v13, 0x3eb8f4ab, v20
	v_mul_f32_e32 v189, 0x3dbcf732, v117
	v_add_f32_e32 v29, v31, v29
	v_fma_f32 v31, v27, s14, -v69
	v_add_f32_e32 v12, v13, v12
	v_mov_b32_e32 v13, v189
	v_add_f32_e32 v29, v31, v29
	v_fma_f32 v31, v28, s15, -v102
	v_fmac_f32_e32 v103, 0xbf06c442, v36
	v_fmac_f32_e32 v13, 0x3f7ee86f, v21
	v_mul_f32_e32 v190, 0xbf59a7d5, v118
	v_add_f32_e32 v29, v31, v29
	v_add_f32_e32 v31, v1, v103
	v_fmac_f32_e32 v104, 0x3f65296c, v16
	v_add_f32_e32 v12, v13, v12
	v_mov_b32_e32 v13, v190
	v_add_f32_e32 v31, v104, v31
	v_fmac_f32_e32 v106, 0xbf7ee86f, v17
	v_fmac_f32_e32 v13, 0x3f06c442, v14
	v_mul_f32_e32 v191, 0xbf65296c, v119
	v_add_f32_e32 v31, v106, v31
	v_fmac_f32_e32 v107, 0x3f4c4adb, v18
	v_add_f32_e32 v13, v13, v12
	v_mov_b32_e32 v12, v191
	v_mul_f32_e32 v192, 0xbf4c4adb, v120
	v_add_f32_e32 v31, v107, v31
	v_fmac_f32_e32 v108, 0xbeb8f4ab, v19
	v_fmac_f32_e32 v12, 0x3ee437d1, v15
	v_mov_b32_e32 v113, v192
	v_add_f32_e32 v31, v108, v31
	v_fmac_f32_e32 v110, 0xbe3c28d5, v20
	v_add_f32_e32 v12, v0, v12
	v_fmac_f32_e32 v113, 0xbf1a4643, v22
	v_mul_f32_e32 v193, 0x3e3c28d5, v121
	v_add_f32_e32 v31, v110, v31
	v_fmac_f32_e32 v111, 0x3f2c7751, v21
	v_add_f32_e32 v12, v113, v12
	v_mov_b32_e32 v113, v193
	v_add_f32_e32 v31, v111, v31
	v_fmac_f32_e32 v112, 0xbf763a35, v14
	v_fmac_f32_e32 v113, 0xbf7ba420, v23
	v_mul_f32_e32 v194, 0x3f763a35, v122
	v_add_f32_e32 v32, v112, v31
	v_fma_f32 v31, v15, s6, -v127
	v_add_f32_e32 v12, v113, v12
	v_mov_b32_e32 v113, v194
	v_add_f32_e32 v31, v0, v31
	v_fma_f32 v33, v22, s13, -v128
	v_fmac_f32_e32 v113, 0xbe8c1d8e, v24
	v_mul_f32_e32 v195, 0x3f2c7751, v123
	v_add_f32_e32 v31, v33, v31
	v_fma_f32 v33, v23, s15, -v129
	v_add_f32_e32 v12, v113, v12
	v_mov_b32_e32 v113, v195
	v_add_f32_e32 v31, v33, v31
	v_fma_f32 v33, v24, s12, -v130
	;; [unrolled: 8-line block ×4, first 2 shown]
	v_fmac_f32_e32 v135, 0xbf4c4adb, v36
	v_fmac_f32_e32 v113, 0x3dbcf732, v27
	v_mul_f32_e32 v198, 0xbf06c442, v126
	v_add_f32_e32 v31, v33, v31
	v_add_f32_e32 v33, v1, v135
	v_fmac_f32_e32 v136, 0x3f763a35, v16
	v_add_f32_e32 v12, v113, v12
	v_mov_b32_e32 v113, v198
	v_add_f32_e32 v33, v136, v33
	v_fmac_f32_e32 v137, 0xbeb8f4ab, v17
	v_fmac_f32_e32 v113, 0xbf59a7d5, v28
	v_mul_f32_e32 v199, 0x3f3d2fb0, v96
	v_add_f32_e32 v33, v137, v33
	v_fmac_f32_e32 v138, 0xbf06c442, v18
	v_add_f32_e32 v12, v113, v12
	v_mov_b32_e32 v113, v199
	v_mul_f32_e32 v200, 0x3dbcf732, v98
	v_add_f32_e32 v33, v138, v33
	v_fmac_f32_e32 v139, 0x3f7ee86f, v19
	v_fmac_f32_e32 v113, 0x3f2c7751, v36
	v_mov_b32_e32 v114, v200
	v_add_f32_e32 v33, v139, v33
	v_fmac_f32_e32 v140, 0xbf2c7751, v20
	v_add_f32_e32 v113, v1, v113
	v_fmac_f32_e32 v114, 0x3f7ee86f, v16
	v_mul_f32_e32 v201, 0xbf1a4643, v100
	v_add_f32_e32 v33, v140, v33
	v_fmac_f32_e32 v141, 0xbe3c28d5, v21
	v_add_f32_e32 v113, v114, v113
	v_mov_b32_e32 v114, v201
	v_add_f32_e32 v33, v141, v33
	v_fmac_f32_e32 v142, 0x3f65296c, v14
	v_fmac_f32_e32 v114, 0x3f4c4adb, v17
	v_mul_f32_e32 v202, 0xbf7ba420, v101
	v_add_f32_e32 v34, v142, v33
	v_fma_f32 v33, v15, s12, -v143
	v_add_f32_e32 v113, v114, v113
	v_mov_b32_e32 v114, v202
	v_add_f32_e32 v33, v0, v33
	v_fma_f32 v35, v22, s14, -v144
	v_fmac_f32_e32 v114, 0x3e3c28d5, v18
	v_mul_f32_e32 v203, 0xbf59a7d5, v115
	v_add_f32_e32 v33, v35, v33
	v_fma_f32 v35, v23, s1, -v145
	v_add_f32_e32 v113, v114, v113
	v_mov_b32_e32 v114, v203
	v_add_f32_e32 v33, v35, v33
	v_fma_f32 v35, v24, s6, -v146
	;; [unrolled: 8-line block ×4, first 2 shown]
	v_fmac_f32_e32 v151, 0xbf763a35, v36
	v_fmac_f32_e32 v114, 0xbf65296c, v21
	v_mul_f32_e32 v206, 0x3f6eb680, v118
	v_add_f32_e32 v33, v35, v33
	v_add_f32_e32 v35, v1, v151
	v_fmac_f32_e32 v152, 0x3f06c442, v16
	v_add_f32_e32 v113, v114, v113
	v_mov_b32_e32 v114, v206
	v_add_f32_e32 v35, v152, v35
	v_fmac_f32_e32 v153, 0x3f2c7751, v17
	v_fmac_f32_e32 v114, 0xbeb8f4ab, v14
	v_mul_f32_e32 v207, 0xbf2c7751, v119
	v_add_f32_e32 v35, v153, v35
	v_fmac_f32_e32 v154, 0xbf65296c, v18
	v_add_f32_e32 v114, v114, v113
	v_mov_b32_e32 v113, v207
	v_mul_f32_e32 v208, 0xbf7ee86f, v120
	v_add_f32_e32 v35, v154, v35
	v_fmac_f32_e32 v155, 0xbe3c28d5, v19
	v_fmac_f32_e32 v113, 0x3f3d2fb0, v15
	v_mov_b32_e32 v209, v208
	v_add_f32_e32 v35, v155, v35
	v_fmac_f32_e32 v156, 0x3f7ee86f, v20
	v_add_f32_e32 v113, v0, v113
	v_fmac_f32_e32 v209, 0x3dbcf732, v22
	;; [unrolled: 2-line block ×3, first 2 shown]
	v_add_f32_e32 v113, v209, v113
	v_mul_f32_e32 v209, 0xbf4c4adb, v121
	v_add_f32_e32 v35, v157, v35
	v_fmac_f32_e32 v158, 0xbf4c4adb, v14
	v_mov_b32_e32 v210, v209
	v_add_f32_e32 v38, v158, v35
	v_fma_f32 v35, v15, s14, -v159
	v_fmac_f32_e32 v210, 0xbf1a4643, v23
	v_add_f32_e32 v35, v0, v35
	v_fma_f32 v37, v22, s6, -v160
	v_add_f32_e32 v113, v210, v113
	v_mul_f32_e32 v210, 0xbe3c28d5, v122
	v_add_f32_e32 v35, v37, v35
	v_fma_f32 v37, v23, s7, -v161
	v_mov_b32_e32 v211, v210
	v_add_f32_e32 v35, v37, v35
	v_fma_f32 v37, v24, s13, -v162
	v_fmac_f32_e32 v211, 0xbf7ba420, v24
	v_add_f32_e32 v35, v37, v35
	v_fma_f32 v37, v25, s0, -v163
	v_add_f32_e32 v113, v211, v113
	v_mul_f32_e32 v211, 0x3f06c442, v123
	v_add_f32_e32 v35, v37, v35
	v_fma_f32 v37, v26, s15, -v164
	v_mov_b32_e32 v212, v211
	v_add_f32_e32 v35, v37, v35
	v_fma_f32 v37, v27, s1, -v165
	v_fmac_f32_e32 v212, 0xbf59a7d5, v25
	v_add_f32_e32 v35, v37, v35
	v_fma_f32 v37, v28, s12, -v166
	v_fmac_f32_e32 v167, 0xbf7ee86f, v36
	v_add_f32_e32 v113, v212, v113
	v_mul_f32_e32 v212, 0x3f763a35, v124
	v_add_f32_e32 v37, v37, v35
	v_add_f32_e32 v35, v1, v167
	v_fmac_f32_e32 v168, 0xbe3c28d5, v16
	v_mov_b32_e32 v213, v212
	v_add_f32_e32 v35, v168, v35
	v_fmac_f32_e32 v169, 0x3f763a35, v17
	v_fmac_f32_e32 v213, 0xbe8c1d8e, v26
	v_add_f32_e32 v35, v169, v35
	v_fmac_f32_e32 v170, 0x3eb8f4ab, v18
	v_add_f32_e32 v113, v213, v113
	v_mul_f32_e32 v213, 0x3f65296c, v125
	v_add_f32_e32 v35, v170, v35
	v_fmac_f32_e32 v171, 0xbf65296c, v19
	v_mov_b32_e32 v214, v213
	v_add_f32_e32 v35, v171, v35
	v_fmac_f32_e32 v172, 0xbf06c442, v20
	v_fmac_f32_e32 v214, 0x3ee437d1, v27
	v_add_f32_e32 v35, v172, v35
	v_fmac_f32_e32 v173, 0x3f4c4adb, v21
	v_add_f32_e32 v113, v214, v113
	v_mul_f32_e32 v214, 0x3eb8f4ab, v126
	v_add_f32_e32 v35, v173, v35
	v_fmac_f32_e32 v174, 0x3f2c7751, v14
	v_mov_b32_e32 v215, v214
	v_add_f32_e32 v40, v174, v35
	v_fma_f32 v35, v15, s15, -v175
	v_fmac_f32_e32 v215, 0x3f6eb680, v28
	v_mul_f32_e32 v96, 0x3f6eb680, v96
	v_add_f32_e32 v35, v0, v35
	v_fma_f32 v39, v22, s0, -v176
	v_add_f32_e32 v113, v215, v113
	v_mov_b32_e32 v215, v96
	v_mul_f32_e32 v98, 0x3f3d2fb0, v98
	v_add_f32_e32 v35, v39, v35
	v_fma_f32 v39, v23, s14, -v177
	v_fmac_f32_e32 v215, 0x3eb8f4ab, v36
	v_mov_b32_e32 v216, v98
	v_add_f32_e32 v35, v39, v35
	v_fma_f32 v39, v24, s1, -v178
	v_add_f32_e32 v215, v1, v215
	v_fmac_f32_e32 v216, 0x3f2c7751, v16
	v_add_f32_e32 v35, v39, v35
	v_fma_f32 v39, v25, s13, -v179
	v_add_f32_e32 v215, v216, v215
	v_mul_f32_e32 v216, 0x3ee437d1, v100
	v_add_f32_e32 v35, v39, v35
	v_fma_f32 v39, v26, s6, -v180
	v_mov_b32_e32 v100, v216
	v_add_f32_e32 v35, v39, v35
	v_fma_f32 v39, v27, s12, -v181
	v_fmac_f32_e32 v100, 0x3f65296c, v17
	v_add_f32_e32 v35, v39, v35
	v_fma_f32 v39, v28, s7, -v182
	v_fmac_f32_e32 v183, 0xbf65296c, v36
	v_add_f32_e32 v100, v100, v215
	v_mul_f32_e32 v215, 0x3dbcf732, v101
	v_add_f32_e32 v39, v39, v35
	v_add_f32_e32 v35, v1, v183
	v_fmac_f32_e32 v184, 0xbf4c4adb, v16
	v_mov_b32_e32 v101, v215
	v_add_f32_e32 v35, v184, v35
	v_fmac_f32_e32 v185, 0x3e3c28d5, v17
	v_fmac_f32_e32 v101, 0x3f7ee86f, v18
	v_mul_f32_e32 v115, 0xbe8c1d8e, v115
	v_add_f32_e32 v35, v185, v35
	v_fmac_f32_e32 v186, 0x3f763a35, v18
	v_add_f32_e32 v100, v101, v100
	v_mov_b32_e32 v101, v115
	v_add_f32_e32 v35, v186, v35
	v_fmac_f32_e32 v187, 0x3f2c7751, v19
	v_fmac_f32_e32 v101, 0x3f763a35, v19
	v_mul_f32_e32 v116, 0xbf1a4643, v116
	v_add_f32_e32 v35, v187, v35
	v_fmac_f32_e32 v188, 0xbeb8f4ab, v20
	v_add_f32_e32 v100, v101, v100
	v_mov_b32_e32 v101, v116
	v_add_f32_e32 v35, v188, v35
	v_fmac_f32_e32 v189, 0xbf7ee86f, v21
	v_fmac_f32_e32 v101, 0x3f4c4adb, v20
	v_mul_f32_e32 v117, 0xbf59a7d5, v117
	v_add_f32_e32 v35, v189, v35
	v_fmac_f32_e32 v190, 0xbf06c442, v14
	v_add_f32_e32 v100, v101, v100
	v_mov_b32_e32 v101, v117
	v_add_f32_e32 v42, v190, v35
	v_fma_f32 v35, v15, s13, -v191
	v_fmac_f32_e32 v101, 0x3f06c442, v21
	v_mul_f32_e32 v118, 0xbf7ba420, v118
	v_add_f32_e32 v35, v0, v35
	v_fma_f32 v41, v22, s12, -v192
	v_add_f32_e32 v100, v101, v100
	v_mov_b32_e32 v101, v118
	v_add_f32_e32 v35, v41, v35
	v_fma_f32 v41, v23, s0, -v193
	v_fmac_f32_e32 v101, 0x3e3c28d5, v14
	v_mul_f32_e32 v119, 0xbeb8f4ab, v119
	v_add_f32_e32 v35, v41, v35
	v_fma_f32 v41, v24, s14, -v194
	v_add_f32_e32 v101, v101, v100
	v_mov_b32_e32 v100, v119
	v_mul_f32_e32 v120, 0xbf2c7751, v120
	v_add_f32_e32 v35, v41, v35
	v_fma_f32 v41, v25, s7, -v195
	v_fmac_f32_e32 v100, 0x3f6eb680, v15
	v_mov_b32_e32 v217, v120
	v_add_f32_e32 v35, v41, v35
	v_fma_f32 v41, v26, s1, -v196
	v_add_f32_e32 v100, v0, v100
	v_fmac_f32_e32 v217, 0x3f3d2fb0, v22
	v_mul_f32_e32 v121, 0xbf65296c, v121
	v_add_f32_e32 v35, v41, v35
	v_fma_f32 v41, v27, s15, -v197
	v_add_f32_e32 v100, v217, v100
	v_mov_b32_e32 v217, v121
	v_add_f32_e32 v35, v41, v35
	v_fma_f32 v41, v28, s6, -v198
	v_fmac_f32_e32 v199, 0xbf2c7751, v36
	v_fmac_f32_e32 v217, 0x3ee437d1, v23
	v_mul_f32_e32 v122, 0xbf7ee86f, v122
	v_add_f32_e32 v41, v41, v35
	v_add_f32_e32 v35, v1, v199
	v_fmac_f32_e32 v200, 0xbf7ee86f, v16
	v_add_f32_e32 v100, v217, v100
	v_mov_b32_e32 v217, v122
	v_add_f32_e32 v35, v200, v35
	v_fmac_f32_e32 v201, 0xbf4c4adb, v17
	v_fmac_f32_e32 v217, 0x3dbcf732, v24
	v_mul_f32_e32 v123, 0xbf763a35, v123
	v_add_f32_e32 v35, v201, v35
	v_fmac_f32_e32 v202, 0xbe3c28d5, v18
	v_add_f32_e32 v100, v217, v100
	v_mov_b32_e32 v217, v123
	v_add_f32_e32 v35, v202, v35
	v_fmac_f32_e32 v203, 0x3f06c442, v19
	v_fmac_f32_e32 v217, 0xbe8c1d8e, v25
	v_mul_f32_e32 v124, 0xbf4c4adb, v124
	;; [unrolled: 8-line block ×3, first 2 shown]
	v_add_f32_e32 v35, v205, v35
	v_fmac_f32_e32 v206, 0x3eb8f4ab, v14
	v_add_f32_e32 v100, v217, v100
	v_mov_b32_e32 v217, v125
	v_add_f32_e32 v44, v206, v35
	v_fma_f32 v35, v15, s7, -v207
	v_fmac_f32_e32 v96, 0xbeb8f4ab, v36
	v_fmac_f32_e32 v118, 0xbe3c28d5, v14
	v_fma_f32 v14, v15, s1, -v119
	v_fmac_f32_e32 v217, 0xbf59a7d5, v27
	v_mul_f32_e32 v126, 0xbe3c28d5, v126
	v_add_f32_e32 v35, v0, v35
	v_fma_f32 v43, v22, s15, -v208
	v_add_f32_e32 v1, v1, v96
	v_fmac_f32_e32 v98, 0xbf2c7751, v16
	v_add_f32_e32 v0, v0, v14
	v_fma_f32 v14, v22, s7, -v120
	v_add_f32_e32 v100, v217, v100
	v_mov_b32_e32 v217, v126
	v_add_f32_e32 v35, v43, v35
	v_fma_f32 v43, v23, s12, -v209
	v_add_f32_e32 v1, v98, v1
	v_fmac_f32_e32 v216, 0xbf65296c, v17
	v_add_f32_e32 v0, v14, v0
	v_fma_f32 v14, v23, s13, -v121
	v_fmac_f32_e32 v217, 0xbf7ba420, v28
	v_add_f32_e32 v35, v43, v35
	v_fma_f32 v43, v24, s0, -v210
	v_add_f32_e32 v1, v216, v1
	v_fmac_f32_e32 v215, 0xbf7ee86f, v18
	v_add_f32_e32 v0, v14, v0
	v_fma_f32 v14, v24, s15, -v122
	v_add_f32_e32 v100, v217, v100
	v_add_f32_e32 v35, v43, v35
	v_fma_f32 v43, v25, s6, -v211
	v_add_f32_e32 v1, v215, v1
	v_fmac_f32_e32 v115, 0xbf763a35, v19
	v_add_f32_e32 v0, v14, v0
	v_fma_f32 v14, v25, s14, -v123
	v_add_f32_e32 v35, v43, v35
	v_fma_f32 v43, v26, s14, -v212
	v_add_f32_e32 v1, v115, v1
	v_fmac_f32_e32 v116, 0xbf4c4adb, v20
	v_add_f32_e32 v0, v14, v0
	v_fma_f32 v14, v26, s12, -v124
	ds_write2_b64 v93, v[50:51], v[100:101] offset1:50
	ds_write2_b64 v93, v[113:114], v[12:13] offset0:100 offset1:150
	ds_write2_b64 v93, v[10:11], v[8:9] offset0:200 offset1:250
	v_add_u32_e32 v8, 0x800, v93
	v_add_f32_e32 v35, v43, v35
	v_fma_f32 v43, v27, s13, -v213
	v_add_f32_e32 v1, v116, v1
	v_fmac_f32_e32 v117, 0xbf06c442, v21
	v_add_f32_e32 v0, v14, v0
	v_fma_f32 v14, v27, s6, -v125
	ds_write2_b64 v8, v[6:7], v[4:5] offset0:44 offset1:94
	ds_write2_b64 v8, v[2:3], v[29:30] offset0:144 offset1:194
	v_add_u32_e32 v2, 0xc00, v93
	v_add_f32_e32 v35, v43, v35
	v_fma_f32 v43, v28, s1, -v214
	v_add_f32_e32 v1, v117, v1
	v_add_f32_e32 v0, v14, v0
	v_fma_f32 v14, v28, s0, -v126
	ds_write2_b64 v2, v[31:32], v[33:34] offset0:116 offset1:166
	v_add_u32_e32 v2, 0x1000, v93
	v_add_f32_e32 v43, v43, v35
	v_add_f32_e32 v1, v118, v1
	;; [unrolled: 1-line block ×3, first 2 shown]
	ds_write2_b64 v2, v[37:38], v[39:40] offset0:88 offset1:138
	ds_write2_b64 v2, v[41:42], v[43:44] offset0:188 offset1:238
	ds_write_b64 v93, v[0:1] offset:6400
.LBB0_9:
	s_or_b64 exec, exec, s[2:3]
	s_waitcnt lgkmcnt(0)
	s_barrier
	ds_read2_b64 v[0:3], v93 offset1:85
	v_mad_u64_u32 v[4:5], s[0:1], s10, v72, 0
	s_mov_b32 s0, 0xace01346
	s_mov_b32 s1, 0x3f534679
	s_waitcnt lgkmcnt(0)
	v_mul_f32_e32 v6, v90, v1
	v_fmac_f32_e32 v6, v89, v0
	v_cvt_f64_f32_e32 v[6:7], v6
	v_mul_f32_e32 v0, v90, v0
	v_fma_f32 v0, v89, v1, -v0
	v_cvt_f64_f32_e32 v[0:1], v0
	v_mul_f64 v[6:7], v[6:7], s[0:1]
	v_mad_u64_u32 v[8:9], s[2:3], s8, v94, 0
	v_mul_f64 v[0:1], v[0:1], s[0:1]
	v_mad_u64_u32 v[10:11], s[2:3], s11, v72, v[5:6]
	v_mov_b32_e32 v5, v9
	v_mad_u64_u32 v[11:12], s[2:3], s9, v94, v[5:6]
	v_mov_b32_e32 v5, v10
	v_cvt_f32_f64_e32 v6, v[6:7]
	v_cvt_f32_f64_e32 v7, v[0:1]
	v_lshlrev_b64 v[0:1], 3, v[4:5]
	v_mul_f32_e32 v4, v88, v3
	v_fmac_f32_e32 v4, v87, v2
	v_mul_f32_e32 v2, v88, v2
	v_fma_f32 v2, v87, v3, -v2
	v_mov_b32_e32 v9, v11
	v_mov_b32_e32 v10, s5
	v_cvt_f64_f32_e32 v[2:3], v2
	v_add_co_u32_e32 v11, vcc, s4, v0
	v_addc_co_u32_e32 v12, vcc, v10, v1, vcc
	v_lshlrev_b64 v[0:1], 3, v[8:9]
	v_cvt_f64_f32_e32 v[4:5], v4
	v_add_co_u32_e32 v10, vcc, v11, v0
	v_mul_f64 v[8:9], v[2:3], s[0:1]
	v_addc_co_u32_e32 v11, vcc, v12, v1, vcc
	ds_read2_b64 v[0:3], v93 offset0:170 offset1:255
	v_mul_f64 v[4:5], v[4:5], s[0:1]
	global_store_dwordx2 v[10:11], v[6:7], off
	s_mul_i32 s2, s9, 0x2a8
	s_mul_hi_u32 s3, s8, 0x2a8
	s_waitcnt lgkmcnt(0)
	v_mul_f32_e32 v6, v86, v1
	v_fmac_f32_e32 v6, v85, v0
	v_mul_f32_e32 v0, v86, v0
	v_fma_f32 v0, v85, v1, -v0
	v_cvt_f64_f32_e32 v[6:7], v6
	v_cvt_f64_f32_e32 v[0:1], v0
	v_cvt_f32_f64_e32 v4, v[4:5]
	v_cvt_f32_f64_e32 v5, v[8:9]
	s_add_i32 s2, s3, s2
	s_mul_i32 s3, s8, 0x2a8
	v_mov_b32_e32 v9, s2
	v_mul_f64 v[6:7], v[6:7], s[0:1]
	v_add_co_u32_e32 v8, vcc, s3, v10
	v_mul_f64 v[0:1], v[0:1], s[0:1]
	v_addc_co_u32_e32 v9, vcc, v11, v9, vcc
	global_store_dwordx2 v[8:9], v[4:5], off
	v_mul_f32_e32 v5, v84, v3
	v_fmac_f32_e32 v5, v83, v2
	v_mul_f32_e32 v2, v84, v2
	v_fma_f32 v2, v83, v3, -v2
	v_cvt_f64_f32_e32 v[2:3], v2
	v_cvt_f32_f64_e32 v4, v[6:7]
	v_cvt_f64_f32_e32 v[6:7], v5
	v_cvt_f32_f64_e32 v5, v[0:1]
	v_add_u32_e32 v0, 0x800, v93
	v_mul_f64 v[10:11], v[2:3], s[0:1]
	ds_read2_b64 v[0:3], v0 offset0:84 offset1:169
	v_mov_b32_e32 v12, s2
	v_add_co_u32_e32 v8, vcc, s3, v8
	v_addc_co_u32_e32 v9, vcc, v9, v12, vcc
	global_store_dwordx2 v[8:9], v[4:5], off
	s_waitcnt lgkmcnt(0)
	v_mul_f32_e32 v4, v82, v1
	v_fmac_f32_e32 v4, v81, v0
	v_cvt_f64_f32_e32 v[4:5], v4
	v_mul_f32_e32 v0, v82, v0
	v_fma_f32 v0, v81, v1, -v0
	v_mul_f64 v[6:7], v[6:7], s[0:1]
	v_mul_f64 v[4:5], v[4:5], s[0:1]
	v_cvt_f64_f32_e32 v[0:1], v0
	v_add_co_u32_e32 v8, vcc, s3, v8
	v_mul_f64 v[0:1], v[0:1], s[0:1]
	v_cvt_f32_f64_e32 v6, v[6:7]
	v_cvt_f32_f64_e32 v4, v[4:5]
	v_mul_f32_e32 v5, v80, v3
	v_fmac_f32_e32 v5, v79, v2
	v_mul_f32_e32 v2, v80, v2
	v_cvt_f32_f64_e32 v7, v[10:11]
	v_fma_f32 v2, v79, v3, -v2
	v_cvt_f64_f32_e32 v[2:3], v2
	v_mov_b32_e32 v10, s2
	v_addc_co_u32_e32 v9, vcc, v9, v10, vcc
	global_store_dwordx2 v[8:9], v[6:7], off
	v_cvt_f64_f32_e32 v[6:7], v5
	v_cvt_f32_f64_e32 v5, v[0:1]
	v_add_u32_e32 v0, 0xc00, v93
	v_mul_f64 v[10:11], v[2:3], s[0:1]
	ds_read2_b64 v[0:3], v0 offset0:126 offset1:211
	v_add_co_u32_e32 v8, vcc, s3, v8
	v_addc_co_u32_e32 v9, vcc, v9, v12, vcc
	global_store_dwordx2 v[8:9], v[4:5], off
	s_waitcnt lgkmcnt(0)
	v_mul_f32_e32 v4, v76, v1
	v_fmac_f32_e32 v4, v75, v0
	v_cvt_f64_f32_e32 v[4:5], v4
	v_mul_f64 v[6:7], v[6:7], s[0:1]
	v_mul_f32_e32 v0, v76, v0
	v_fma_f32 v0, v75, v1, -v0
	v_mul_f64 v[4:5], v[4:5], s[0:1]
	v_cvt_f64_f32_e32 v[0:1], v0
	v_add_co_u32_e32 v8, vcc, s3, v8
	v_cvt_f32_f64_e32 v6, v[6:7]
	v_cvt_f32_f64_e32 v7, v[10:11]
	v_mul_f64 v[0:1], v[0:1], s[0:1]
	v_mov_b32_e32 v10, s2
	v_cvt_f32_f64_e32 v4, v[4:5]
	v_mul_f32_e32 v5, v71, v3
	v_addc_co_u32_e32 v9, vcc, v9, v10, vcc
	v_fmac_f32_e32 v5, v70, v2
	global_store_dwordx2 v[8:9], v[6:7], off
	v_cvt_f64_f32_e32 v[6:7], v5
	v_mul_f32_e32 v2, v71, v2
	v_fma_f32 v2, v70, v3, -v2
	v_cvt_f64_f32_e32 v[2:3], v2
	v_mul_f64 v[6:7], v[6:7], s[0:1]
	v_cvt_f32_f64_e32 v5, v[0:1]
	v_mov_b32_e32 v0, s2
	v_add_co_u32_e32 v8, vcc, s3, v8
	v_addc_co_u32_e32 v9, vcc, v9, v0, vcc
	v_add_u32_e32 v0, 0x1000, v93
	v_mul_f64 v[10:11], v[2:3], s[0:1]
	ds_read2_b64 v[0:3], v0 offset0:168 offset1:253
	global_store_dwordx2 v[8:9], v[4:5], off
	v_cvt_f32_f64_e32 v4, v[6:7]
	v_add_co_u32_e32 v8, vcc, s3, v8
	s_waitcnt lgkmcnt(0)
	v_mul_f32_e32 v6, v78, v1
	v_fmac_f32_e32 v6, v77, v0
	v_mul_f32_e32 v0, v78, v0
	v_fma_f32 v0, v77, v1, -v0
	v_cvt_f32_f64_e32 v5, v[10:11]
	v_cvt_f64_f32_e32 v[6:7], v6
	v_cvt_f64_f32_e32 v[0:1], v0
	v_mov_b32_e32 v10, s2
	v_addc_co_u32_e32 v9, vcc, v9, v10, vcc
	global_store_dwordx2 v[8:9], v[4:5], off
	v_mul_f64 v[4:5], v[6:7], s[0:1]
	v_mul_f64 v[0:1], v[0:1], s[0:1]
	v_mul_f32_e32 v6, v238, v3
	v_fmac_f32_e32 v6, v237, v2
	v_mul_f32_e32 v2, v238, v2
	v_fma_f32 v2, v237, v3, -v2
	v_cvt_f64_f32_e32 v[6:7], v6
	v_cvt_f64_f32_e32 v[2:3], v2
	v_cvt_f32_f64_e32 v4, v[4:5]
	v_cvt_f32_f64_e32 v5, v[0:1]
	v_mul_f64 v[0:1], v[6:7], s[0:1]
	v_mul_f64 v[2:3], v[2:3], s[0:1]
	v_mov_b32_e32 v7, s2
	v_add_co_u32_e32 v6, vcc, s3, v8
	v_addc_co_u32_e32 v7, vcc, v9, v7, vcc
	global_store_dwordx2 v[6:7], v[4:5], off
	v_cvt_f32_f64_e32 v0, v[0:1]
	v_cvt_f32_f64_e32 v1, v[2:3]
	v_mov_b32_e32 v3, s2
	v_add_co_u32_e32 v2, vcc, s3, v6
	v_addc_co_u32_e32 v3, vcc, v7, v3, vcc
	global_store_dwordx2 v[2:3], v[0:1], off
.LBB0_10:
	s_endpgm
	.section	.rodata,"a",@progbits
	.p2align	6, 0x0
	.amdhsa_kernel bluestein_single_fwd_len850_dim1_sp_op_CI_CI
		.amdhsa_group_segment_fixed_size 6800
		.amdhsa_private_segment_fixed_size 200
		.amdhsa_kernarg_size 104
		.amdhsa_user_sgpr_count 6
		.amdhsa_user_sgpr_private_segment_buffer 1
		.amdhsa_user_sgpr_dispatch_ptr 0
		.amdhsa_user_sgpr_queue_ptr 0
		.amdhsa_user_sgpr_kernarg_segment_ptr 1
		.amdhsa_user_sgpr_dispatch_id 0
		.amdhsa_user_sgpr_flat_scratch_init 0
		.amdhsa_user_sgpr_private_segment_size 0
		.amdhsa_uses_dynamic_stack 0
		.amdhsa_system_sgpr_private_segment_wavefront_offset 1
		.amdhsa_system_sgpr_workgroup_id_x 1
		.amdhsa_system_sgpr_workgroup_id_y 0
		.amdhsa_system_sgpr_workgroup_id_z 0
		.amdhsa_system_sgpr_workgroup_info 0
		.amdhsa_system_vgpr_workitem_id 0
		.amdhsa_next_free_vgpr 256
		.amdhsa_next_free_sgpr 24
		.amdhsa_reserve_vcc 1
		.amdhsa_reserve_flat_scratch 0
		.amdhsa_float_round_mode_32 0
		.amdhsa_float_round_mode_16_64 0
		.amdhsa_float_denorm_mode_32 3
		.amdhsa_float_denorm_mode_16_64 3
		.amdhsa_dx10_clamp 1
		.amdhsa_ieee_mode 1
		.amdhsa_fp16_overflow 0
		.amdhsa_exception_fp_ieee_invalid_op 0
		.amdhsa_exception_fp_denorm_src 0
		.amdhsa_exception_fp_ieee_div_zero 0
		.amdhsa_exception_fp_ieee_overflow 0
		.amdhsa_exception_fp_ieee_underflow 0
		.amdhsa_exception_fp_ieee_inexact 0
		.amdhsa_exception_int_div_zero 0
	.end_amdhsa_kernel
	.text
.Lfunc_end0:
	.size	bluestein_single_fwd_len850_dim1_sp_op_CI_CI, .Lfunc_end0-bluestein_single_fwd_len850_dim1_sp_op_CI_CI
                                        ; -- End function
	.section	.AMDGPU.csdata,"",@progbits
; Kernel info:
; codeLenInByte = 18772
; NumSgprs: 28
; NumVgprs: 256
; ScratchSize: 200
; MemoryBound: 0
; FloatMode: 240
; IeeeMode: 1
; LDSByteSize: 6800 bytes/workgroup (compile time only)
; SGPRBlocks: 3
; VGPRBlocks: 63
; NumSGPRsForWavesPerEU: 28
; NumVGPRsForWavesPerEU: 256
; Occupancy: 1
; WaveLimiterHint : 1
; COMPUTE_PGM_RSRC2:SCRATCH_EN: 1
; COMPUTE_PGM_RSRC2:USER_SGPR: 6
; COMPUTE_PGM_RSRC2:TRAP_HANDLER: 0
; COMPUTE_PGM_RSRC2:TGID_X_EN: 1
; COMPUTE_PGM_RSRC2:TGID_Y_EN: 0
; COMPUTE_PGM_RSRC2:TGID_Z_EN: 0
; COMPUTE_PGM_RSRC2:TIDIG_COMP_CNT: 0
	.type	__hip_cuid_2520826f3c4bc34,@object ; @__hip_cuid_2520826f3c4bc34
	.section	.bss,"aw",@nobits
	.globl	__hip_cuid_2520826f3c4bc34
__hip_cuid_2520826f3c4bc34:
	.byte	0                               ; 0x0
	.size	__hip_cuid_2520826f3c4bc34, 1

	.ident	"AMD clang version 19.0.0git (https://github.com/RadeonOpenCompute/llvm-project roc-6.4.0 25133 c7fe45cf4b819c5991fe208aaa96edf142730f1d)"
	.section	".note.GNU-stack","",@progbits
	.addrsig
	.addrsig_sym __hip_cuid_2520826f3c4bc34
	.amdgpu_metadata
---
amdhsa.kernels:
  - .args:
      - .actual_access:  read_only
        .address_space:  global
        .offset:         0
        .size:           8
        .value_kind:     global_buffer
      - .actual_access:  read_only
        .address_space:  global
        .offset:         8
        .size:           8
        .value_kind:     global_buffer
      - .actual_access:  read_only
        .address_space:  global
        .offset:         16
        .size:           8
        .value_kind:     global_buffer
      - .actual_access:  read_only
        .address_space:  global
        .offset:         24
        .size:           8
        .value_kind:     global_buffer
      - .actual_access:  read_only
        .address_space:  global
        .offset:         32
        .size:           8
        .value_kind:     global_buffer
      - .offset:         40
        .size:           8
        .value_kind:     by_value
      - .address_space:  global
        .offset:         48
        .size:           8
        .value_kind:     global_buffer
      - .address_space:  global
        .offset:         56
        .size:           8
        .value_kind:     global_buffer
      - .address_space:  global
        .offset:         64
        .size:           8
        .value_kind:     global_buffer
      - .address_space:  global
        .offset:         72
        .size:           8
        .value_kind:     global_buffer
      - .offset:         80
        .size:           4
        .value_kind:     by_value
      - .address_space:  global
        .offset:         88
        .size:           8
        .value_kind:     global_buffer
      - .address_space:  global
        .offset:         96
        .size:           8
        .value_kind:     global_buffer
    .group_segment_fixed_size: 6800
    .kernarg_segment_align: 8
    .kernarg_segment_size: 104
    .language:       OpenCL C
    .language_version:
      - 2
      - 0
    .max_flat_workgroup_size: 85
    .name:           bluestein_single_fwd_len850_dim1_sp_op_CI_CI
    .private_segment_fixed_size: 200
    .sgpr_count:     28
    .sgpr_spill_count: 0
    .symbol:         bluestein_single_fwd_len850_dim1_sp_op_CI_CI.kd
    .uniform_work_group_size: 1
    .uses_dynamic_stack: false
    .vgpr_count:     256
    .vgpr_spill_count: 49
    .wavefront_size: 64
amdhsa.target:   amdgcn-amd-amdhsa--gfx906
amdhsa.version:
  - 1
  - 2
...

	.end_amdgpu_metadata
